;; amdgpu-corpus repo=ROCm/rocFFT kind=compiled arch=gfx906 opt=O3
	.text
	.amdgcn_target "amdgcn-amd-amdhsa--gfx906"
	.amdhsa_code_object_version 6
	.protected	bluestein_single_back_len1650_dim1_sp_op_CI_CI ; -- Begin function bluestein_single_back_len1650_dim1_sp_op_CI_CI
	.globl	bluestein_single_back_len1650_dim1_sp_op_CI_CI
	.p2align	8
	.type	bluestein_single_back_len1650_dim1_sp_op_CI_CI,@function
bluestein_single_back_len1650_dim1_sp_op_CI_CI: ; @bluestein_single_back_len1650_dim1_sp_op_CI_CI
; %bb.0:
	s_load_dwordx4 s[8:11], s[4:5], 0x28
	v_mul_u32_u24_e32 v1, 0x254, v0
	v_add_u32_sdwa v124, s6, v1 dst_sel:DWORD dst_unused:UNUSED_PAD src0_sel:DWORD src1_sel:WORD_1
	v_mov_b32_e32 v125, 0
	s_waitcnt lgkmcnt(0)
	v_cmp_gt_u64_e32 vcc, s[8:9], v[124:125]
	s_and_saveexec_b64 s[0:1], vcc
	s_cbranch_execz .LBB0_23
; %bb.1:
	s_load_dwordx4 s[0:3], s[4:5], 0x18
	s_load_dwordx2 s[16:17], s[4:5], 0x0
	s_waitcnt lgkmcnt(0)
	s_load_dwordx4 s[12:15], s[0:1], 0x0
	s_movk_i32 s0, 0x6e
	v_mul_lo_u16_sdwa v1, v1, s0 dst_sel:DWORD dst_unused:UNUSED_PAD src0_sel:WORD_1 src1_sel:DWORD
	v_sub_u16_e32 v154, v0, v1
	v_lshlrev_b32_e32 v153, 3, v154
	s_waitcnt lgkmcnt(0)
	v_mad_u64_u32 v[0:1], s[0:1], s14, v124, 0
	v_mad_u64_u32 v[2:3], s[0:1], s12, v154, 0
	v_add_co_u32_e64 v108, s[6:7], s16, v153
	v_mad_u64_u32 v[4:5], s[0:1], s15, v124, v[1:2]
	v_mad_u64_u32 v[5:6], s[0:1], s13, v154, v[3:4]
	v_mov_b32_e32 v1, v4
	v_lshlrev_b64 v[0:1], 3, v[0:1]
	v_mov_b32_e32 v6, s11
	v_mov_b32_e32 v3, v5
	v_add_co_u32_e32 v4, vcc, s10, v0
	v_addc_co_u32_e32 v5, vcc, v6, v1, vcc
	v_lshlrev_b64 v[0:1], 3, v[2:3]
	s_mul_i32 s0, s13, 0x96
	s_mul_hi_u32 s1, s12, 0x96
	v_add_co_u32_e32 v0, vcc, v4, v0
	v_mov_b32_e32 v2, s17
	s_add_i32 s1, s1, s0
	s_mul_i32 s0, s12, 0x96
	v_addc_co_u32_e32 v1, vcc, v5, v1, vcc
	v_addc_co_u32_e64 v109, vcc, 0, v2, s[6:7]
	s_lshl_b64 s[18:19], s[0:1], 3
	v_mov_b32_e32 v28, s19
	v_add_co_u32_e32 v2, vcc, s18, v0
	v_addc_co_u32_e32 v3, vcc, v1, v28, vcc
	v_add_co_u32_e32 v4, vcc, s18, v2
	v_addc_co_u32_e32 v5, vcc, v3, v28, vcc
	;; [unrolled: 2-line block ×3, first 2 shown]
	global_load_dwordx2 v[8:9], v[0:1], off
	global_load_dwordx2 v[10:11], v[2:3], off
	;; [unrolled: 1-line block ×4, first 2 shown]
	global_load_dwordx2 v[131:132], v153, s[16:17]
	global_load_dwordx2 v[129:130], v153, s[16:17] offset:1200
	global_load_dwordx2 v[127:128], v153, s[16:17] offset:2400
	;; [unrolled: 1-line block ×3, first 2 shown]
	v_add_co_u32_e32 v2, vcc, s18, v6
	v_addc_co_u32_e32 v3, vcc, v7, v28, vcc
	s_movk_i32 s0, 0x1000
	v_add_co_u32_e32 v0, vcc, s0, v108
	v_addc_co_u32_e32 v1, vcc, 0, v109, vcc
	global_load_dwordx2 v[16:17], v[2:3], off
	v_add_co_u32_e32 v2, vcc, s18, v2
	v_addc_co_u32_e32 v3, vcc, v3, v28, vcc
	global_load_dwordx2 v[18:19], v[2:3], off
	v_add_co_u32_e32 v2, vcc, s18, v2
	v_addc_co_u32_e32 v3, vcc, v3, v28, vcc
	v_add_co_u32_e32 v4, vcc, s18, v2
	v_addc_co_u32_e32 v5, vcc, v3, v28, vcc
	s_movk_i32 s0, 0x2000
	global_load_dwordx2 v[20:21], v[2:3], off
	global_load_dwordx2 v[125:126], v[0:1], off offset:704
	global_load_dwordx2 v[120:121], v[0:1], off offset:1904
	;; [unrolled: 1-line block ×3, first 2 shown]
	v_add_co_u32_e32 v2, vcc, s0, v108
	v_addc_co_u32_e32 v3, vcc, 0, v109, vcc
	global_load_dwordx2 v[22:23], v[4:5], off
	v_add_co_u32_e32 v4, vcc, s18, v4
	v_addc_co_u32_e32 v5, vcc, v5, v28, vcc
	global_load_dwordx2 v[116:117], v[2:3], off offset:208
	global_load_dwordx2 v[24:25], v[4:5], off
	global_load_dwordx2 v[114:115], v[2:3], off offset:1408
	v_add_co_u32_e32 v4, vcc, s18, v4
	v_addc_co_u32_e32 v5, vcc, v5, v28, vcc
	global_load_dwordx2 v[26:27], v[4:5], off
	global_load_dwordx2 v[112:113], v[2:3], off offset:2608
	v_add_co_u32_e32 v4, vcc, s18, v4
	v_addc_co_u32_e32 v5, vcc, v5, v28, vcc
	global_load_dwordx2 v[28:29], v[4:5], off
	global_load_dwordx2 v[110:111], v[2:3], off offset:3808
	s_load_dwordx2 s[14:15], s[4:5], 0x38
	s_load_dwordx4 s[8:11], s[2:3], 0x0
	v_cmp_gt_u16_e64 s[0:1], 40, v154
	s_waitcnt vmcnt(17)
	v_mul_f32_e32 v6, v9, v132
	v_mul_f32_e32 v7, v8, v132
	v_fmac_f32_e32 v6, v8, v131
	v_fma_f32 v7, v9, v131, -v7
	s_waitcnt vmcnt(16)
	v_mul_f32_e32 v8, v11, v130
	v_mul_f32_e32 v9, v10, v130
	v_fmac_f32_e32 v8, v10, v129
	v_fma_f32 v9, v11, v129, -v9
	ds_write2_b64 v153, v[6:7], v[8:9] offset1:150
	s_waitcnt vmcnt(15)
	v_mul_f32_e32 v6, v12, v128
	v_mul_f32_e32 v7, v13, v128
	v_fma_f32 v8, v13, v127, -v6
	s_waitcnt vmcnt(14)
	v_mul_f32_e32 v9, v15, v123
	v_mul_f32_e32 v6, v14, v123
	v_fmac_f32_e32 v7, v12, v127
	v_fmac_f32_e32 v9, v14, v122
	v_fma_f32 v10, v15, v122, -v6
	v_add_u32_e32 v6, 0x800, v153
	ds_write2_b64 v6, v[7:8], v[9:10] offset0:44 offset1:194
	v_add_u32_e32 v12, 0x1c00, v153
	v_add_u32_e32 v13, 0x2400, v153
	s_waitcnt vmcnt(10)
	v_mul_f32_e32 v7, v16, v126
	v_mul_f32_e32 v8, v17, v126
	v_fma_f32 v9, v17, v125, -v7
	s_waitcnt vmcnt(9)
	v_mul_f32_e32 v10, v19, v121
	v_mul_f32_e32 v7, v18, v121
	v_fmac_f32_e32 v8, v16, v125
	v_fmac_f32_e32 v10, v18, v120
	v_fma_f32 v11, v19, v120, -v7
	v_add_u32_e32 v7, 0x1000, v153
	ds_write2_b64 v7, v[8:9], v[10:11] offset0:88 offset1:238
	s_waitcnt vmcnt(8)
	v_mul_f32_e32 v8, v21, v119
	v_mul_f32_e32 v9, v20, v119
	s_waitcnt vmcnt(6)
	v_mul_f32_e32 v10, v23, v117
	v_mul_f32_e32 v11, v22, v117
	v_fmac_f32_e32 v8, v20, v118
	v_fma_f32 v9, v21, v118, -v9
	v_fmac_f32_e32 v10, v22, v116
	v_fma_f32 v11, v23, v116, -v11
	ds_write2_b64 v12, v[8:9], v[10:11] offset0:4 offset1:154
	s_waitcnt vmcnt(4)
	v_mul_f32_e32 v8, v25, v115
	v_mul_f32_e32 v9, v24, v115
	s_waitcnt vmcnt(2)
	v_mul_f32_e32 v10, v27, v113
	v_mul_f32_e32 v11, v26, v113
	v_fmac_f32_e32 v8, v24, v114
	v_fma_f32 v9, v25, v114, -v9
	v_fmac_f32_e32 v10, v26, v112
	v_fma_f32 v11, v27, v112, -v11
	ds_write2_b64 v13, v[8:9], v[10:11] offset0:48 offset1:198
	s_waitcnt vmcnt(0)
	v_mul_f32_e32 v8, v29, v111
	v_mul_f32_e32 v9, v28, v111
	v_fmac_f32_e32 v8, v28, v110
	v_fma_f32 v9, v29, v110, -v9
	ds_write_b64 v153, v[8:9] offset:12000
	s_and_saveexec_b64 s[2:3], s[0:1]
	s_cbranch_execz .LBB0_3
; %bb.2:
	v_mov_b32_e32 v8, 0xffffd490
	v_mad_u64_u32 v[4:5], s[20:21], s12, v8, v[4:5]
	s_mulk_i32 s13, 0xd490
	s_sub_i32 s12, s13, s12
	v_add_u32_e32 v5, s12, v5
	global_load_dwordx2 v[8:9], v[4:5], off
	v_mov_b32_e32 v48, s19
	v_add_co_u32_e32 v4, vcc, s18, v4
	v_addc_co_u32_e32 v5, vcc, v5, v48, vcc
	global_load_dwordx2 v[10:11], v[4:5], off
	v_add_co_u32_e32 v4, vcc, s18, v4
	v_addc_co_u32_e32 v5, vcc, v5, v48, vcc
	global_load_dwordx2 v[14:15], v[4:5], off
	v_add_co_u32_e32 v4, vcc, s18, v4
	v_addc_co_u32_e32 v5, vcc, v5, v48, vcc
	global_load_dwordx2 v[16:17], v[4:5], off
	global_load_dwordx2 v[18:19], v[108:109], off offset:880
	global_load_dwordx2 v[20:21], v[108:109], off offset:2080
	;; [unrolled: 1-line block ×4, first 2 shown]
	v_add_co_u32_e32 v4, vcc, s18, v4
	v_addc_co_u32_e32 v5, vcc, v5, v48, vcc
	global_load_dwordx2 v[26:27], v[4:5], off
	global_load_dwordx2 v[28:29], v[0:1], off offset:1584
	v_add_co_u32_e32 v4, vcc, s18, v4
	v_addc_co_u32_e32 v5, vcc, v5, v48, vcc
	global_load_dwordx2 v[30:31], v[4:5], off
	v_add_co_u32_e32 v4, vcc, s18, v4
	v_addc_co_u32_e32 v5, vcc, v5, v48, vcc
	global_load_dwordx2 v[32:33], v[4:5], off
	v_add_co_u32_e32 v4, vcc, s18, v4
	v_addc_co_u32_e32 v5, vcc, v5, v48, vcc
	global_load_dwordx2 v[34:35], v[0:1], off offset:2784
	global_load_dwordx2 v[36:37], v[4:5], off
	global_load_dwordx2 v[38:39], v[0:1], off offset:3984
	global_load_dwordx2 v[40:41], v[2:3], off offset:1088
	v_add_co_u32_e32 v0, vcc, s18, v4
	v_addc_co_u32_e32 v1, vcc, v5, v48, vcc
	global_load_dwordx2 v[4:5], v[0:1], off
	v_add_co_u32_e32 v0, vcc, s18, v0
	v_addc_co_u32_e32 v1, vcc, v1, v48, vcc
	global_load_dwordx2 v[42:43], v[0:1], off
	global_load_dwordx2 v[44:45], v[2:3], off offset:2288
	global_load_dwordx2 v[46:47], v[2:3], off offset:3488
	v_add_co_u32_e32 v0, vcc, s18, v0
	v_addc_co_u32_e32 v1, vcc, v1, v48, vcc
	v_add_co_u32_e32 v2, vcc, 0x3000, v108
	v_addc_co_u32_e32 v3, vcc, 0, v109, vcc
	global_load_dwordx2 v[48:49], v[2:3], off offset:592
	global_load_dwordx2 v[50:51], v[0:1], off
	v_add_u32_e32 v52, 0x200, v153
	s_waitcnt vmcnt(17)
	v_mul_f32_e32 v0, v9, v19
	v_mul_f32_e32 v1, v8, v19
	s_waitcnt vmcnt(16)
	v_mul_f32_e32 v2, v11, v21
	v_mul_f32_e32 v3, v10, v21
	v_fmac_f32_e32 v0, v8, v18
	v_fma_f32 v1, v9, v18, -v1
	v_fmac_f32_e32 v2, v10, v20
	v_fma_f32 v3, v11, v20, -v3
	s_waitcnt vmcnt(15)
	v_mul_f32_e32 v8, v15, v23
	v_mul_f32_e32 v9, v14, v23
	ds_write2_b64 v52, v[0:1], v[2:3] offset0:46 offset1:196
	s_waitcnt vmcnt(14)
	v_mul_f32_e32 v0, v17, v25
	v_mul_f32_e32 v1, v16, v25
	v_fmac_f32_e32 v8, v14, v22
	v_fma_f32 v9, v15, v22, -v9
	v_fmac_f32_e32 v0, v16, v24
	v_fma_f32 v1, v17, v24, -v1
	v_add_u32_e32 v2, 0xc00, v153
	ds_write2_b64 v2, v[8:9], v[0:1] offset0:26 offset1:176
	s_waitcnt vmcnt(12)
	v_mul_f32_e32 v0, v27, v29
	v_mul_f32_e32 v1, v26, v29
	s_waitcnt vmcnt(9)
	v_mul_f32_e32 v2, v31, v35
	v_mul_f32_e32 v3, v30, v35
	v_fmac_f32_e32 v0, v26, v28
	v_fma_f32 v1, v27, v28, -v1
	v_fmac_f32_e32 v2, v30, v34
	v_fma_f32 v3, v31, v34, -v3
	v_add_u32_e32 v8, 0x1400, v153
	ds_write2_b64 v8, v[0:1], v[2:3] offset0:70 offset1:220
	s_waitcnt vmcnt(7)
	v_mul_f32_e32 v0, v33, v39
	v_mul_f32_e32 v1, v32, v39
	;; [unrolled: 12-line block ×4, first 2 shown]
	v_fmac_f32_e32 v0, v50, v48
	v_fma_f32 v1, v51, v48, -v1
	ds_write_b64 v153, v[0:1] offset:12880
.LBB0_3:
	s_or_b64 exec, exec, s[2:3]
	s_waitcnt lgkmcnt(0)
	s_barrier
	ds_read2_b64 v[36:39], v153 offset1:150
	ds_read2_b64 v[8:11], v6 offset0:44 offset1:194
	ds_read2_b64 v[0:3], v7 offset0:88 offset1:238
	ds_read2_b64 v[4:7], v12 offset0:4 offset1:154
	ds_read2_b64 v[32:35], v13 offset0:48 offset1:198
	ds_read_b64 v[44:45], v153 offset:12000
	v_mov_b32_e32 v12, 0
	v_mov_b32_e32 v13, 0
                                        ; implicit-def: $vgpr16
                                        ; implicit-def: $vgpr28
                                        ; implicit-def: $vgpr40
                                        ; implicit-def: $vgpr26
                                        ; implicit-def: $vgpr22
	s_and_saveexec_b64 s[2:3], s[0:1]
	s_cbranch_execz .LBB0_5
; %bb.4:
	v_add_u32_e32 v16, 0xc00, v153
	ds_read2_b64 v[20:23], v16 offset0:26 offset1:176
	v_add_u32_e32 v16, 0x1400, v153
	v_add_u32_e32 v12, 0x200, v153
	ds_read2_b64 v[24:27], v16 offset0:70 offset1:220
	v_add_u32_e32 v16, 0x1e00, v153
	v_add_u32_e32 v28, 0x2800, v153
	ds_read2_b64 v[12:15], v12 offset0:46 offset1:196
	ds_read2_b64 v[16:19], v16 offset0:50 offset1:200
	ds_read2_b64 v[28:31], v28 offset0:30 offset1:180
	ds_read_b64 v[40:41], v153 offset:12880
.LBB0_5:
	s_or_b64 exec, exec, s[2:3]
	s_waitcnt lgkmcnt(5)
	v_add_f32_e32 v42, v36, v38
	v_add_f32_e32 v43, v37, v39
	s_waitcnt lgkmcnt(4)
	v_add_f32_e32 v42, v42, v8
	v_add_f32_e32 v43, v43, v9
	v_add_f32_e32 v42, v42, v10
	v_add_f32_e32 v43, v43, v11
	s_waitcnt lgkmcnt(3)
	v_add_f32_e32 v42, v42, v0
	v_add_f32_e32 v43, v43, v1
	;; [unrolled: 5-line block ×3, first 2 shown]
	v_add_f32_e32 v42, v42, v6
	v_add_f32_e32 v43, v43, v7
	s_waitcnt lgkmcnt(1)
	v_add_f32_e32 v42, v42, v32
	s_movk_i32 s2, 0x6e
	v_add_f32_e32 v43, v43, v33
	v_add_f32_e32 v42, v42, v34
	s_waitcnt lgkmcnt(0)
	v_add_f32_e32 v46, v44, v38
	v_add_f32_e32 v47, v45, v39
	v_sub_f32_e32 v38, v38, v44
	v_sub_f32_e32 v39, v39, v45
	s_load_dwordx2 s[12:13], s[4:5], 0x8
	v_add_co_u32_e32 v60, vcc, s2, v154
	v_add_f32_e32 v43, v43, v35
	v_add_f32_e32 v42, v42, v44
	v_mul_f32_e32 v44, 0xbf0a6770, v39
	s_mov_b32 s4, 0x3f575c64
	v_mul_f32_e32 v48, 0xbf0a6770, v38
	v_mul_f32_e32 v50, 0xbf68dda4, v39
	s_mov_b32 s2, 0x3ed4b147
	v_mul_f32_e32 v52, 0xbf68dda4, v38
	;; [unrolled: 3-line block ×5, first 2 shown]
	v_add_f32_e32 v43, v43, v45
	v_fma_f32 v45, v46, s4, -v44
	v_mov_b32_e32 v49, v48
	v_fmac_f32_e32 v44, 0x3f575c64, v46
	v_fma_f32 v51, v46, s2, -v50
	v_mov_b32_e32 v53, v52
	v_fmac_f32_e32 v50, 0x3ed4b147, v46
	;; [unrolled: 3-line block ×5, first 2 shown]
	v_add_f32_e32 v45, v36, v45
	v_fmac_f32_e32 v49, 0x3f575c64, v47
	v_add_f32_e32 v44, v36, v44
	v_fma_f32 v48, v47, s4, -v48
	v_add_f32_e32 v51, v36, v51
	v_fmac_f32_e32 v53, 0x3ed4b147, v47
	v_add_f32_e32 v50, v36, v50
	v_fma_f32 v52, v47, s2, -v52
	;; [unrolled: 4-line block ×5, first 2 shown]
	v_add_f32_e32 v39, v35, v9
	v_sub_f32_e32 v9, v9, v35
	v_add_f32_e32 v49, v37, v49
	v_add_f32_e32 v48, v37, v48
	;; [unrolled: 1-line block ×11, first 2 shown]
	v_sub_f32_e32 v8, v8, v34
	v_mul_f32_e32 v34, 0xbf68dda4, v9
	v_fma_f32 v35, v38, s2, -v34
	v_add_f32_e32 v35, v35, v45
	v_mul_f32_e32 v45, 0xbf68dda4, v8
	v_fmac_f32_e32 v34, 0x3ed4b147, v38
	v_mov_b32_e32 v46, v45
	v_add_f32_e32 v34, v34, v44
	v_fma_f32 v44, v39, s2, -v45
	v_mul_f32_e32 v45, 0xbf4178ce, v9
	v_fmac_f32_e32 v46, 0x3ed4b147, v39
	v_add_f32_e32 v44, v44, v48
	v_fma_f32 v47, v38, s5, -v45
	v_mul_f32_e32 v48, 0xbf4178ce, v8
	v_fmac_f32_e32 v45, 0xbf27a4f4, v38
	v_add_f32_e32 v46, v46, v49
	v_mov_b32_e32 v49, v48
	v_add_f32_e32 v45, v45, v50
	v_fma_f32 v48, v39, s5, -v48
	v_mul_f32_e32 v50, 0x3e903f40, v9
	v_add_f32_e32 v47, v47, v51
	v_fmac_f32_e32 v49, 0xbf27a4f4, v39
	v_add_f32_e32 v48, v48, v52
	v_fma_f32 v51, v38, s16, -v50
	v_mul_f32_e32 v52, 0x3e903f40, v8
	v_fmac_f32_e32 v50, 0xbf75a155, v38
	v_add_f32_e32 v49, v49, v53
	v_mov_b32_e32 v53, v52
	v_add_f32_e32 v50, v50, v54
	v_fma_f32 v52, v39, s16, -v52
	v_mul_f32_e32 v54, 0x3f7d64f0, v9
	v_add_f32_e32 v51, v51, v55
	v_add_f32_e32 v52, v52, v56
	v_fma_f32 v55, v38, s3, -v54
	v_mul_f32_e32 v56, 0x3f7d64f0, v8
	v_mul_f32_e32 v8, 0x3f0a6770, v8
	v_add_f32_e32 v55, v55, v59
	v_fmac_f32_e32 v54, 0xbe11bafb, v38
	v_mul_f32_e32 v9, 0x3f0a6770, v9
	v_mov_b32_e32 v59, v8
	v_fma_f32 v8, v39, s4, -v8
	v_add_f32_e32 v54, v54, v58
	v_fma_f32 v58, v38, s4, -v9
	v_fmac_f32_e32 v9, 0x3f575c64, v38
	v_add_f32_e32 v8, v8, v37
	v_add_f32_e32 v37, v33, v11
	v_sub_f32_e32 v11, v11, v33
	v_add_f32_e32 v9, v9, v36
	v_add_f32_e32 v36, v32, v10
	v_sub_f32_e32 v10, v10, v32
	v_mul_f32_e32 v32, 0xbf7d64f0, v11
	v_fma_f32 v33, v36, s3, -v32
	v_fmac_f32_e32 v53, 0xbf75a155, v39
	v_add_f32_e32 v33, v33, v35
	v_mul_f32_e32 v35, 0xbf7d64f0, v10
	v_fmac_f32_e32 v32, 0xbe11bafb, v36
	v_add_f32_e32 v53, v53, v57
	v_mov_b32_e32 v57, v56
	v_mov_b32_e32 v38, v35
	v_add_f32_e32 v32, v32, v34
	v_fma_f32 v34, v37, s3, -v35
	v_mul_f32_e32 v35, 0x3e903f40, v11
	v_fmac_f32_e32 v57, 0xbe11bafb, v39
	v_fma_f32 v56, v39, s3, -v56
	v_fmac_f32_e32 v59, 0x3f575c64, v39
	v_fma_f32 v39, v36, s16, -v35
	v_fmac_f32_e32 v35, 0xbf75a155, v36
	v_fmac_f32_e32 v38, 0xbe11bafb, v37
	v_add_f32_e32 v34, v34, v44
	v_mul_f32_e32 v44, 0x3e903f40, v10
	v_add_f32_e32 v35, v35, v45
	v_mul_f32_e32 v45, 0x3f68dda4, v11
	v_add_f32_e32 v38, v38, v46
	v_add_f32_e32 v39, v39, v47
	v_mov_b32_e32 v46, v44
	v_fma_f32 v44, v37, s16, -v44
	v_fma_f32 v47, v36, s2, -v45
	v_fmac_f32_e32 v45, 0x3ed4b147, v36
	v_fmac_f32_e32 v46, 0xbf75a155, v37
	v_add_f32_e32 v44, v44, v48
	v_mul_f32_e32 v48, 0x3f68dda4, v10
	v_add_f32_e32 v45, v45, v50
	v_mul_f32_e32 v50, 0xbf0a6770, v11
	v_add_f32_e32 v46, v46, v49
	v_add_f32_e32 v47, v47, v51
	v_mov_b32_e32 v49, v48
	v_fma_f32 v48, v37, s2, -v48
	v_fma_f32 v51, v36, s4, -v50
	v_fmac_f32_e32 v50, 0x3f575c64, v36
	v_mul_f32_e32 v11, 0xbf4178ce, v11
	v_add_f32_e32 v48, v48, v52
	v_mul_f32_e32 v52, 0xbf0a6770, v10
	v_add_f32_e32 v50, v50, v54
	v_fma_f32 v54, v36, s5, -v11
	v_mul_f32_e32 v10, 0xbf4178ce, v10
	v_fmac_f32_e32 v11, 0xbf27a4f4, v36
	v_add_f32_e32 v51, v51, v55
	v_mov_b32_e32 v55, v10
	v_add_f32_e32 v9, v11, v9
	v_fma_f32 v10, v37, s5, -v10
	v_add_f32_e32 v11, v7, v1
	v_sub_f32_e32 v1, v1, v7
	v_add_f32_e32 v8, v10, v8
	v_add_f32_e32 v10, v6, v0
	v_sub_f32_e32 v0, v0, v6
	v_mul_f32_e32 v6, 0xbf4178ce, v1
	v_fma_f32 v7, v10, s5, -v6
	v_fmac_f32_e32 v49, 0x3ed4b147, v37
	v_add_f32_e32 v7, v7, v33
	v_mul_f32_e32 v33, 0xbf4178ce, v0
	v_fmac_f32_e32 v6, 0xbf27a4f4, v10
	v_add_f32_e32 v49, v49, v53
	v_mov_b32_e32 v53, v52
	v_mov_b32_e32 v36, v33
	v_add_f32_e32 v6, v6, v32
	v_fma_f32 v32, v11, s5, -v33
	v_mul_f32_e32 v33, 0x3f7d64f0, v1
	v_fmac_f32_e32 v53, 0x3f575c64, v37
	v_fma_f32 v52, v37, s4, -v52
	v_fmac_f32_e32 v55, 0xbf27a4f4, v37
	v_fmac_f32_e32 v36, 0xbf27a4f4, v11
	v_add_f32_e32 v32, v32, v34
	v_fma_f32 v34, v10, s3, -v33
	v_mul_f32_e32 v37, 0x3f7d64f0, v0
	v_fmac_f32_e32 v33, 0xbe11bafb, v10
	v_add_f32_e32 v36, v36, v38
	v_mov_b32_e32 v38, v37
	v_add_f32_e32 v33, v33, v35
	v_fma_f32 v35, v11, s3, -v37
	v_mul_f32_e32 v37, 0xbf0a6770, v1
	v_add_f32_e32 v34, v34, v39
	v_fma_f32 v39, v10, s4, -v37
	v_fmac_f32_e32 v37, 0x3f575c64, v10
	v_fmac_f32_e32 v38, 0xbe11bafb, v11
	v_add_f32_e32 v35, v35, v44
	v_mul_f32_e32 v44, 0xbf0a6770, v0
	v_add_f32_e32 v37, v37, v45
	v_mul_f32_e32 v45, 0xbe903f40, v1
	v_add_f32_e32 v38, v38, v46
	v_add_f32_e32 v39, v39, v47
	v_mov_b32_e32 v46, v44
	v_fma_f32 v44, v11, s4, -v44
	v_fma_f32 v47, v10, s16, -v45
	v_fmac_f32_e32 v45, 0xbf75a155, v10
	v_mul_f32_e32 v1, 0x3f68dda4, v1
	v_add_f32_e32 v44, v44, v48
	v_mul_f32_e32 v48, 0xbe903f40, v0
	v_add_f32_e32 v45, v45, v50
	v_fma_f32 v50, v10, s2, -v1
	v_mul_f32_e32 v0, 0x3f68dda4, v0
	v_fmac_f32_e32 v1, 0x3ed4b147, v10
	v_add_f32_e32 v47, v47, v51
	v_mov_b32_e32 v51, v0
	v_add_f32_e32 v1, v1, v9
	v_fma_f32 v0, v11, s2, -v0
	v_add_f32_e32 v9, v5, v3
	v_sub_f32_e32 v3, v3, v5
	v_add_f32_e32 v0, v0, v8
	v_add_f32_e32 v8, v4, v2
	v_sub_f32_e32 v2, v2, v4
	v_mul_f32_e32 v4, 0xbe903f40, v3
	v_fma_f32 v5, v8, s16, -v4
	v_add_f32_e32 v69, v5, v7
	v_mul_f32_e32 v5, 0xbe903f40, v2
	v_fmac_f32_e32 v4, 0xbf75a155, v8
	v_add_f32_e32 v71, v4, v6
	v_fma_f32 v4, v9, s16, -v5
	v_add_f32_e32 v72, v4, v32
	v_mul_f32_e32 v4, 0x3f0a6770, v3
	v_mov_b32_e32 v7, v5
	v_fma_f32 v5, v8, s4, -v4
	v_add_f32_e32 v73, v5, v34
	v_mul_f32_e32 v5, 0x3f0a6770, v2
	v_fmac_f32_e32 v4, 0x3f575c64, v8
	v_add_f32_e32 v75, v4, v33
	v_fma_f32 v4, v9, s4, -v5
	v_add_f32_e32 v76, v4, v35
	v_mul_f32_e32 v4, 0xbf4178ce, v3
	v_mov_b32_e32 v6, v5
	v_fma_f32 v5, v8, s5, -v4
	v_add_f32_e32 v77, v5, v39
	v_mul_f32_e32 v5, 0xbf4178ce, v2
	v_fmac_f32_e32 v4, 0xbf27a4f4, v8
	v_add_f32_e32 v79, v4, v37
	v_fma_f32 v4, v9, s5, -v5
	v_fmac_f32_e32 v6, 0x3f575c64, v9
	v_add_f32_e32 v80, v4, v44
	v_mul_f32_e32 v4, 0x3f68dda4, v3
	v_add_f32_e32 v56, v56, v61
	v_fmac_f32_e32 v46, 0x3f575c64, v11
	v_add_f32_e32 v74, v6, v38
	v_mov_b32_e32 v6, v5
	v_fma_f32 v5, v8, s2, -v4
	v_add_f32_e32 v52, v52, v56
	v_add_f32_e32 v46, v46, v49
	v_mov_b32_e32 v49, v48
	v_fma_f32 v48, v11, s16, -v48
	v_add_f32_e32 v81, v5, v47
	v_mul_f32_e32 v5, 0x3f68dda4, v2
	v_fmac_f32_e32 v4, 0x3ed4b147, v8
	v_add_f32_e32 v48, v48, v52
	v_add_f32_e32 v83, v4, v45
	v_fma_f32 v4, v9, s2, -v5
	v_mul_f32_e32 v3, 0xbf7d64f0, v3
	v_add_f32_e32 v84, v4, v48
	v_fma_f32 v4, v8, s3, -v3
	v_mul_f32_e32 v2, 0xbf7d64f0, v2
	v_fmac_f32_e32 v3, 0xbe11bafb, v8
	v_add_f32_e32 v57, v57, v62
	v_fmac_f32_e32 v6, 0xbf27a4f4, v9
	v_add_f32_e32 v87, v3, v1
	v_fma_f32 v1, v9, s3, -v2
	v_add_f32_e32 v53, v53, v57
	v_fmac_f32_e32 v49, 0xbf75a155, v11
	v_add_f32_e32 v78, v6, v46
	v_mov_b32_e32 v6, v5
	v_add_f32_e32 v88, v1, v0
	v_sub_f32_e32 v0, v14, v40
	v_add_f32_e32 v58, v58, v63
	v_add_f32_e32 v49, v49, v53
	v_fmac_f32_e32 v7, 0xbf75a155, v9
	v_fmac_f32_e32 v6, 0x3ed4b147, v9
	v_add_f32_e32 v37, v41, v15
	v_sub_f32_e32 v1, v15, v41
	v_mul_f32_e32 v38, 0xbf4178ce, v0
	v_add_f32_e32 v54, v54, v58
	v_add_f32_e32 v70, v7, v36
	;; [unrolled: 1-line block ×4, first 2 shown]
	v_mul_f32_e32 v32, 0xbf0a6770, v1
	v_mul_f32_e32 v34, 0xbf68dda4, v1
	;; [unrolled: 1-line block ×4, first 2 shown]
	v_mov_b32_e32 v39, v38
	v_fma_f32 v38, v37, s5, -v38
	v_mul_f32_e32 v1, 0xbe903f40, v1
	v_add_f32_e32 v59, v59, v64
	v_add_f32_e32 v50, v50, v54
	v_mul_f32_e32 v33, 0xbf0a6770, v0
	v_mul_f32_e32 v35, 0xbf68dda4, v0
	;; [unrolled: 1-line block ×3, first 2 shown]
	v_add_f32_e32 v45, v38, v13
	v_fma_f32 v38, v36, s16, -v1
	v_mul_f32_e32 v0, 0xbe903f40, v0
	v_add_f32_e32 v55, v55, v59
	v_fmac_f32_e32 v51, 0x3ed4b147, v11
	v_add_f32_e32 v85, v4, v50
	v_mov_b32_e32 v4, v2
	v_add_f32_e32 v50, v38, v12
	v_mov_b32_e32 v38, v0
	v_add_f32_e32 v51, v51, v55
	v_fmac_f32_e32 v4, 0xbe11bafb, v9
	v_fmac_f32_e32 v38, 0xbf75a155, v37
	v_sub_f32_e32 v53, v21, v31
	v_add_f32_e32 v86, v4, v51
	v_mov_b32_e32 v2, v32
	v_add_f32_e32 v51, v38, v13
	v_mul_f32_e32 v38, 0xbf68dda4, v53
	v_fmac_f32_e32 v2, 0x3f575c64, v36
	v_fmac_f32_e32 v39, 0xbf27a4f4, v37
	v_add_f32_e32 v48, v30, v20
	v_sub_f32_e32 v52, v20, v30
	v_mov_b32_e32 v46, v38
	v_add_f32_e32 v2, v2, v12
	v_fma_f32 v3, v37, s4, -v33
	v_add_f32_e32 v44, v39, v13
	v_add_f32_e32 v49, v31, v21
	v_mul_f32_e32 v39, 0xbf68dda4, v52
	v_fmac_f32_e32 v46, 0x3ed4b147, v48
	v_add_f32_e32 v3, v3, v13
	v_add_f32_e32 v2, v46, v2
	v_fma_f32 v46, v49, s2, -v39
	v_mov_b32_e32 v4, v34
	v_add_f32_e32 v3, v46, v3
	v_mul_f32_e32 v46, 0xbf4178ce, v53
	v_fmac_f32_e32 v4, 0x3ed4b147, v36
	v_mov_b32_e32 v54, v46
	v_add_f32_e32 v4, v4, v12
	v_fma_f32 v5, v37, s2, -v35
	v_mul_f32_e32 v47, 0xbf4178ce, v52
	v_fmac_f32_e32 v54, 0xbf27a4f4, v48
	v_add_f32_e32 v5, v5, v13
	v_add_f32_e32 v4, v54, v4
	v_fma_f32 v54, v49, s5, -v47
	v_fma_f32 v7, v36, s3, -v6
	v_add_f32_e32 v5, v54, v5
	v_mul_f32_e32 v54, 0x3e903f40, v53
	v_add_f32_e32 v7, v7, v12
	v_fmac_f32_e32 v6, 0xbe11bafb, v36
	v_fma_f32 v55, v48, s16, -v54
	v_mov_b32_e32 v9, v8
	v_add_f32_e32 v6, v6, v12
	v_fma_f32 v8, v37, s3, -v8
	v_add_f32_e32 v7, v55, v7
	v_mul_f32_e32 v55, 0x3e903f40, v52
	v_fmac_f32_e32 v54, 0xbf75a155, v48
	v_add_f32_e32 v8, v8, v13
	v_add_f32_e32 v6, v54, v6
	v_fma_f32 v54, v49, s16, -v55
	v_fma_f32 v11, v36, s5, -v10
	v_add_f32_e32 v8, v54, v8
	v_mul_f32_e32 v54, 0x3f7d64f0, v53
	v_fmac_f32_e32 v9, 0xbe11bafb, v37
	v_add_f32_e32 v11, v11, v12
	v_fmac_f32_e32 v10, 0xbf27a4f4, v36
	v_mov_b32_e32 v56, v55
	v_fma_f32 v55, v48, s3, -v54
	v_add_f32_e32 v9, v9, v13
	v_add_f32_e32 v10, v10, v12
	v_fmac_f32_e32 v56, 0xbf75a155, v49
	v_add_f32_e32 v11, v55, v11
	v_mul_f32_e32 v55, 0x3f7d64f0, v52
	v_fmac_f32_e32 v54, 0xbe11bafb, v48
	v_add_f32_e32 v9, v56, v9
	v_mov_b32_e32 v56, v55
	v_add_f32_e32 v10, v54, v10
	v_fma_f32 v54, v49, s3, -v55
	v_mul_f32_e32 v53, 0x3f0a6770, v53
	v_fmac_f32_e32 v56, 0xbe11bafb, v49
	v_add_f32_e32 v45, v54, v45
	v_fma_f32 v54, v48, s4, -v53
	v_fma_f32 v0, v37, s16, -v0
	v_add_f32_e32 v44, v56, v44
	v_add_f32_e32 v56, v54, v50
	v_mul_f32_e32 v50, 0x3f0a6770, v52
	v_add_f32_e32 v0, v0, v13
	v_mov_b32_e32 v52, v50
	v_fma_f32 v50, v49, s4, -v50
	v_sub_f32_e32 v59, v23, v29
	v_fmac_f32_e32 v52, 0x3f575c64, v49
	v_add_f32_e32 v0, v50, v0
	v_mul_f32_e32 v50, 0xbf7d64f0, v59
	v_add_f32_e32 v57, v52, v51
	v_add_f32_e32 v54, v28, v22
	v_sub_f32_e32 v58, v22, v28
	v_mov_b32_e32 v52, v50
	v_add_f32_e32 v55, v29, v23
	v_mul_f32_e32 v51, 0xbf7d64f0, v58
	v_fmac_f32_e32 v52, 0xbe11bafb, v54
	v_add_f32_e32 v2, v52, v2
	v_fma_f32 v52, v55, s3, -v51
	v_fmac_f32_e32 v1, 0xbf75a155, v36
	v_add_f32_e32 v3, v52, v3
	v_mul_f32_e32 v52, 0x3e903f40, v59
	v_add_f32_e32 v1, v1, v12
	v_fmac_f32_e32 v53, 0x3f575c64, v48
	v_mov_b32_e32 v61, v52
	v_add_f32_e32 v1, v53, v1
	v_mul_f32_e32 v53, 0x3e903f40, v58
	v_fmac_f32_e32 v61, 0xbf75a155, v54
	v_add_f32_e32 v4, v61, v4
	v_fma_f32 v61, v55, s16, -v53
	v_add_f32_e32 v5, v61, v5
	v_mul_f32_e32 v61, 0x3f68dda4, v59
	v_fma_f32 v62, v54, s2, -v61
	v_add_f32_e32 v7, v62, v7
	v_mul_f32_e32 v62, 0x3f68dda4, v58
	v_fmac_f32_e32 v61, 0x3ed4b147, v54
	v_add_f32_e32 v6, v61, v6
	v_fma_f32 v61, v55, s2, -v62
	v_add_f32_e32 v8, v61, v8
	v_mul_f32_e32 v61, 0xbf0a6770, v59
	v_mov_b32_e32 v63, v62
	v_fma_f32 v62, v54, s4, -v61
	v_fmac_f32_e32 v63, 0x3ed4b147, v55
	v_add_f32_e32 v11, v62, v11
	v_mul_f32_e32 v62, 0xbf0a6770, v58
	v_fmac_f32_e32 v61, 0x3f575c64, v54
	v_add_f32_e32 v9, v63, v9
	v_mov_b32_e32 v63, v62
	v_add_f32_e32 v10, v61, v10
	v_fma_f32 v61, v55, s4, -v62
	v_mul_f32_e32 v59, 0xbf4178ce, v59
	v_fmac_f32_e32 v63, 0x3f575c64, v55
	v_add_f32_e32 v45, v61, v45
	v_fma_f32 v61, v54, s5, -v59
	v_add_f32_e32 v44, v63, v44
	v_add_f32_e32 v63, v61, v56
	v_mul_f32_e32 v56, 0xbf4178ce, v58
	v_mov_b32_e32 v58, v56
	v_fma_f32 v56, v55, s5, -v56
	v_sub_f32_e32 v66, v25, v19
	v_fmac_f32_e32 v58, 0xbf27a4f4, v55
	v_add_f32_e32 v0, v56, v0
	v_mul_f32_e32 v56, 0xbf4178ce, v66
	v_add_f32_e32 v64, v58, v57
	v_add_f32_e32 v61, v18, v24
	v_sub_f32_e32 v65, v24, v18
	v_mov_b32_e32 v58, v56
	v_add_f32_e32 v62, v19, v25
	v_mul_f32_e32 v57, 0xbf4178ce, v65
	v_fmac_f32_e32 v58, 0xbf27a4f4, v61
	v_add_f32_e32 v2, v58, v2
	v_fma_f32 v58, v62, s5, -v57
	v_add_f32_e32 v3, v58, v3
	v_mul_f32_e32 v58, 0x3f7d64f0, v66
	v_fmac_f32_e32 v59, 0xbf27a4f4, v54
	v_mov_b32_e32 v67, v58
	v_add_f32_e32 v1, v59, v1
	v_mul_f32_e32 v59, 0x3f7d64f0, v65
	v_fmac_f32_e32 v67, 0xbe11bafb, v61
	v_add_f32_e32 v4, v67, v4
	v_fma_f32 v67, v62, s3, -v59
	v_add_f32_e32 v5, v67, v5
	v_mul_f32_e32 v67, 0xbf0a6770, v66
	v_fma_f32 v68, v61, s4, -v67
	v_add_f32_e32 v7, v68, v7
	v_mul_f32_e32 v68, 0xbf0a6770, v65
	v_fmac_f32_e32 v67, 0x3f575c64, v61
	v_add_f32_e32 v6, v67, v6
	v_fma_f32 v67, v62, s4, -v68
	v_add_f32_e32 v8, v67, v8
	v_mul_f32_e32 v67, 0xbe903f40, v66
	v_mov_b32_e32 v89, v68
	v_fma_f32 v68, v61, s16, -v67
	v_fmac_f32_e32 v89, 0x3f575c64, v62
	v_add_f32_e32 v11, v68, v11
	v_mul_f32_e32 v68, 0xbe903f40, v65
	v_add_f32_e32 v9, v89, v9
	v_mov_b32_e32 v89, v68
	v_fmac_f32_e32 v89, 0xbf75a155, v62
	v_add_f32_e32 v89, v89, v44
	v_fma_f32 v44, v62, s16, -v68
	v_add_f32_e32 v90, v44, v45
	v_mul_f32_e32 v44, 0x3f68dda4, v66
	v_fma_f32 v45, v61, s2, -v44
	v_add_f32_e32 v91, v45, v63
	v_mul_f32_e32 v45, 0x3f68dda4, v65
	v_mov_b32_e32 v63, v45
	v_fmac_f32_e32 v63, 0x3ed4b147, v62
	v_fmac_f32_e32 v44, 0x3ed4b147, v61
	v_sub_f32_e32 v96, v27, v17
	v_add_f32_e32 v92, v63, v64
	v_add_f32_e32 v93, v44, v1
	v_fma_f32 v1, v62, s2, -v45
	v_mul_f32_e32 v63, 0xbe903f40, v96
	v_fmac_f32_e32 v67, 0xbf75a155, v61
	v_add_f32_e32 v94, v1, v0
	v_add_f32_e32 v66, v16, v26
	v_sub_f32_e32 v95, v26, v16
	v_mov_b32_e32 v0, v63
	v_add_f32_e32 v10, v67, v10
	v_add_f32_e32 v67, v17, v27
	v_mul_f32_e32 v64, 0xbe903f40, v95
	v_fmac_f32_e32 v0, 0xbf75a155, v66
	v_add_f32_e32 v133, v0, v2
	v_fma_f32 v0, v67, s16, -v64
	v_mul_f32_e32 v65, 0x3f0a6770, v96
	v_add_f32_e32 v134, v0, v3
	v_mov_b32_e32 v0, v65
	v_mul_f32_e32 v68, 0x3f0a6770, v95
	v_fmac_f32_e32 v0, 0x3f575c64, v66
	v_add_f32_e32 v2, v0, v4
	v_fma_f32 v0, v67, s4, -v68
	v_add_f32_e32 v3, v0, v5
	v_mul_f32_e32 v0, 0xbf4178ce, v96
	v_fma_f32 v1, v66, s5, -v0
	v_add_f32_e32 v44, v1, v7
	v_mul_f32_e32 v1, 0xbf4178ce, v95
	v_mov_b32_e32 v4, v1
	v_fmac_f32_e32 v0, 0xbf27a4f4, v66
	v_fmac_f32_e32 v4, 0xbf27a4f4, v67
	v_add_f32_e32 v0, v0, v6
	v_mul_f32_e32 v6, 0x3f68dda4, v96
	v_mul_f32_e32 v7, 0x3f68dda4, v95
	v_add_f32_e32 v45, v4, v9
	v_fma_f32 v1, v67, s5, -v1
	v_fma_f32 v4, v66, s2, -v6
	v_mov_b32_e32 v5, v7
	v_fmac_f32_e32 v6, 0x3ed4b147, v66
	v_mul_f32_e32 v9, 0xbf7d64f0, v95
	v_add_f32_e32 v1, v1, v8
	v_fmac_f32_e32 v5, 0x3ed4b147, v67
	v_add_f32_e32 v10, v6, v10
	v_fma_f32 v6, v67, s2, -v7
	v_mul_f32_e32 v8, 0xbf7d64f0, v96
	v_mov_b32_e32 v7, v9
	v_add_f32_e32 v4, v4, v11
	v_add_f32_e32 v5, v5, v89
	;; [unrolled: 1-line block ×3, first 2 shown]
	v_fma_f32 v6, v66, s3, -v8
	v_fmac_f32_e32 v7, 0xbe11bafb, v67
	v_fmac_f32_e32 v8, 0xbe11bafb, v66
	v_fma_f32 v9, v67, s3, -v9
	v_mul_lo_u16_e32 v89, 11, v154
	v_add_f32_e32 v6, v6, v91
	v_add_f32_e32 v7, v7, v92
	;; [unrolled: 1-line block ×4, first 2 shown]
	v_lshlrev_b32_e32 v165, 3, v89
	v_mul_u32_u24_e32 v155, 11, v60
	s_waitcnt lgkmcnt(0)
	s_barrier
	ds_write2_b64 v165, v[42:43], v[69:70] offset1:1
	ds_write2_b64 v165, v[73:74], v[77:78] offset0:2 offset1:3
	ds_write2_b64 v165, v[81:82], v[85:86] offset0:4 offset1:5
	;; [unrolled: 1-line block ×4, first 2 shown]
	ds_write_b64 v165, v[71:72] offset:80
	s_and_saveexec_b64 s[2:3], s[0:1]
	s_cbranch_execz .LBB0_7
; %bb.6:
	v_mul_f32_e32 v42, 0x3f575c64, v36
	v_mul_f32_e32 v36, 0x3ed4b147, v36
	;; [unrolled: 1-line block ×4, first 2 shown]
	v_sub_f32_e32 v34, v36, v34
	v_mul_f32_e32 v71, 0xbe11bafb, v54
	v_mul_f32_e32 v54, 0xbf75a155, v54
	v_add_f32_e32 v34, v34, v12
	v_sub_f32_e32 v36, v48, v46
	v_mul_f32_e32 v43, 0x3f575c64, v37
	v_mul_f32_e32 v37, 0x3ed4b147, v37
	;; [unrolled: 1-line block ×4, first 2 shown]
	v_add_f32_e32 v34, v36, v34
	v_sub_f32_e32 v36, v54, v52
	v_mul_f32_e32 v75, 0xbf75a155, v66
	v_mul_f32_e32 v66, 0x3f575c64, v66
	v_add_f32_e32 v35, v35, v37
	v_add_f32_e32 v34, v36, v34
	v_sub_f32_e32 v36, v61, v58
	v_add_f32_e32 v33, v33, v43
	v_sub_f32_e32 v32, v42, v32
	v_mul_f32_e32 v70, 0x3ed4b147, v49
	v_add_f32_e32 v35, v35, v13
	v_add_f32_e32 v34, v36, v34
	v_sub_f32_e32 v36, v66, v65
	v_add_f32_e32 v33, v33, v13
	v_add_f32_e32 v32, v32, v12
	v_add_f32_e32 v13, v15, v13
	v_add_f32_e32 v12, v14, v12
	v_mul_f32_e32 v72, 0xbe11bafb, v55
	v_add_f32_e32 v34, v36, v34
	v_add_f32_e32 v36, v39, v70
	v_add_f32_e32 v13, v21, v13
	v_add_f32_e32 v12, v20, v12
	v_mul_f32_e32 v74, 0xbf27a4f4, v62
	;; [unrolled: 5-line block ×3, first 2 shown]
	v_add_f32_e32 v33, v36, v33
	v_add_f32_e32 v36, v57, v74
	;; [unrolled: 1-line block ×8, first 2 shown]
	v_mul_f32_e32 v49, 0xbf27a4f4, v49
	v_add_f32_e32 v33, v36, v33
	v_sub_f32_e32 v36, v69, v38
	v_add_f32_e32 v13, v17, v13
	v_add_f32_e32 v12, v16, v12
	v_mul_f32_e32 v55, 0xbf75a155, v55
	v_add_f32_e32 v37, v47, v49
	v_add_f32_e32 v32, v36, v32
	v_sub_f32_e32 v36, v71, v50
	v_add_f32_e32 v13, v19, v13
	v_add_f32_e32 v12, v18, v12
	v_mul_f32_e32 v62, 0xbe11bafb, v62
	v_add_f32_e32 v35, v37, v35
	v_add_f32_e32 v37, v53, v55
	;; [unrolled: 1-line block ×3, first 2 shown]
	v_sub_f32_e32 v36, v73, v56
	v_add_f32_e32 v13, v29, v13
	v_add_f32_e32 v12, v28, v12
	v_mul_f32_e32 v67, 0x3f575c64, v67
	v_add_f32_e32 v35, v37, v35
	v_add_f32_e32 v37, v59, v62
	;; [unrolled: 1-line block ×3, first 2 shown]
	v_sub_f32_e32 v36, v75, v63
	v_add_f32_e32 v13, v31, v13
	v_add_f32_e32 v12, v30, v12
	;; [unrolled: 1-line block ×7, first 2 shown]
	v_lshlrev_b32_e32 v14, 3, v155
	v_add_f32_e32 v35, v37, v35
	ds_write2_b64 v14, v[12:13], v[32:33] offset1:1
	ds_write2_b64 v14, v[34:35], v[44:45] offset0:2 offset1:3
	ds_write2_b64 v14, v[4:5], v[6:7] offset0:4 offset1:5
	;; [unrolled: 1-line block ×4, first 2 shown]
	ds_write_b64 v14, v[133:134] offset:80
.LBB0_7:
	s_or_b64 exec, exec, s[2:3]
	v_add_u32_e32 v20, 0x1c00, v153
	v_add_u32_e32 v24, 0x2000, v153
	s_waitcnt lgkmcnt(0)
	s_barrier
	v_add_u32_e32 v12, 0x1400, v153
	ds_read2_b64 v[28:31], v20 offset0:39 offset1:149
	v_add_u32_e32 v20, 0x400, v153
	ds_read2_b64 v[32:35], v24 offset0:131 offset1:241
	v_add_u32_e32 v24, 0xc00, v153
	v_add_u32_e32 v36, 0x2800, v153
	ds_read2_b64 v[16:19], v153 offset1:110
	ds_read2_b64 v[12:15], v12 offset0:20 offset1:185
	ds_read2_b64 v[20:23], v20 offset0:92 offset1:202
	;; [unrolled: 1-line block ×4, first 2 shown]
	v_cmp_gt_u16_e64 s[2:3], 55, v154
	s_and_saveexec_b64 s[4:5], s[2:3]
	s_cbranch_execz .LBB0_9
; %bb.8:
	ds_read_b64 v[44:45], v153 offset:6160
	ds_read_b64 v[4:5], v153 offset:12760
.LBB0_9:
	s_or_b64 exec, exec, s[4:5]
	v_add_co_u32_e32 v68, vcc, 0xdc, v154
	s_movk_i32 s16, 0x1b8
	s_mov_b64 s[4:5], vcc
	v_add_co_u32_e32 v40, vcc, s16, v154
	s_movk_i32 s16, 0x226
	v_add_co_u32_e32 v47, vcc, s16, v154
	s_movk_i32 s16, 0x294
	v_add_co_u32_e32 v48, vcc, s16, v154
	s_movk_i32 s16, 0x75
	v_mul_lo_u16_sdwa v42, v154, s16 dst_sel:DWORD dst_unused:UNUSED_PAD src0_sel:BYTE_0 src1_sel:DWORD
	v_sub_u16_sdwa v43, v154, v42 dst_sel:DWORD dst_unused:UNUSED_PAD src0_sel:DWORD src1_sel:BYTE_1
	v_lshrrev_b16_e32 v43, 1, v43
	v_and_b32_e32 v43, 0x7f, v43
	v_add_u16_sdwa v42, v43, v42 dst_sel:DWORD dst_unused:UNUSED_PAD src0_sel:DWORD src1_sel:BYTE_1
	v_mul_lo_u16_sdwa v43, v60, s16 dst_sel:DWORD dst_unused:UNUSED_PAD src0_sel:BYTE_0 src1_sel:DWORD
	v_sub_u16_sdwa v46, v60, v43 dst_sel:DWORD dst_unused:UNUSED_PAD src0_sel:DWORD src1_sel:BYTE_1
	v_lshrrev_b16_e32 v46, 1, v46
	v_and_b32_e32 v46, 0x7f, v46
	v_add_u16_sdwa v43, v46, v43 dst_sel:DWORD dst_unused:UNUSED_PAD src0_sel:DWORD src1_sel:BYTE_1
	v_lshrrev_b16_e32 v51, 3, v43
	s_mov_b32 s16, 0xba2f
	v_mul_lo_u16_e32 v43, 11, v51
	v_mul_u32_u24_sdwa v46, v68, s16 dst_sel:DWORD dst_unused:UNUSED_PAD src0_sel:WORD_0 src1_sel:DWORD
	v_sub_u16_e32 v43, v60, v43
	v_lshrrev_b32_e32 v54, 19, v46
	v_add_co_u32_e32 v41, vcc, 0x14a, v154
	v_lshrrev_b16_e32 v49, 3, v42
	v_and_b32_e32 v52, 0xff, v43
	v_mul_lo_u16_e32 v43, 11, v54
	v_mul_lo_u16_e32 v42, 11, v49
	v_sub_u16_e32 v55, v68, v43
	v_mul_u32_u24_sdwa v43, v41, s16 dst_sel:DWORD dst_unused:UNUSED_PAD src0_sel:WORD_0 src1_sel:DWORD
	v_sub_u16_e32 v42, v154, v42
	v_lshrrev_b32_e32 v57, 19, v43
	v_and_b32_e32 v50, 0xff, v42
	v_mul_lo_u16_e32 v58, 11, v57
	v_lshlrev_b32_e32 v42, 3, v50
	v_sub_u16_e32 v58, v41, v58
	v_lshlrev_b32_e32 v53, 3, v52
	v_lshlrev_b32_e32 v56, 3, v55
	v_lshlrev_b32_e32 v59, 3, v58
	global_load_dwordx2 v[143:144], v42, s[12:13]
	global_load_dwordx2 v[141:142], v53, s[12:13]
	;; [unrolled: 1-line block ×4, first 2 shown]
	v_mul_u32_u24_sdwa v42, v40, s16 dst_sel:DWORD dst_unused:UNUSED_PAD src0_sel:WORD_0 src1_sel:DWORD
	v_mul_u32_u24_sdwa v61, v47, s16 dst_sel:DWORD dst_unused:UNUSED_PAD src0_sel:WORD_0 src1_sel:DWORD
	v_lshrrev_b32_e32 v53, 19, v42
	v_lshrrev_b32_e32 v61, 19, v61
	v_mul_lo_u16_e32 v56, 11, v53
	v_mul_lo_u16_e32 v62, 11, v61
	v_sub_u16_e32 v56, v40, v56
	v_sub_u16_e32 v47, v47, v62
	v_mul_u32_u24_sdwa v63, v48, s16 dst_sel:DWORD dst_unused:UNUSED_PAD src0_sel:WORD_0 src1_sel:DWORD
	v_lshlrev_b32_e32 v59, 3, v56
	v_lshlrev_b32_e32 v62, 3, v47
	v_lshrrev_b32_e32 v63, 19, v63
	global_load_dwordx2 v[147:148], v59, s[12:13]
	global_load_dwordx2 v[145:146], v62, s[12:13]
	v_mul_lo_u16_e32 v59, 11, v63
	v_add_u16_e32 v62, 0x302, v154
	v_sub_u16_e32 v48, v48, v59
	v_mul_u32_u24_e32 v64, 0xba2f, v62
	v_lshlrev_b32_e32 v59, 3, v48
	v_lshrrev_b32_e32 v156, 19, v64
	global_load_dwordx2 v[149:150], v59, s[12:13]
	v_mul_lo_u16_e32 v59, 11, v156
	v_sub_u16_e32 v157, v62, v59
	v_lshlrev_b32_e32 v59, 3, v157
	global_load_dwordx2 v[135:136], v59, s[12:13]
	v_mul_u32_u24_e32 v49, 22, v49
	v_add_lshl_u32 v158, v49, v50, 3
	s_waitcnt vmcnt(0) lgkmcnt(0)
	s_barrier
	s_movk_i32 s16, 0x14a
	v_addc_co_u32_e64 v69, s[4:5], 0, 0, s[4:5]
	v_mul_f32_e32 v62, v14, v144
	v_mul_f32_e32 v59, v15, v144
	v_fmac_f32_e32 v62, v15, v143
	v_mul_f32_e32 v66, v31, v140
	v_fma_f32 v14, v14, v143, -v59
	v_mul_f32_e32 v67, v30, v140
	v_fma_f32 v30, v30, v139, -v66
	v_sub_f32_e32 v14, v16, v14
	v_fma_f32 v16, v16, 2.0, -v14
	v_mul_f32_e32 v64, v29, v142
	v_mul_f32_e32 v70, v33, v138
	;; [unrolled: 1-line block ×4, first 2 shown]
	v_fma_f32 v28, v28, v141, -v64
	v_fma_f32 v32, v32, v137, -v70
	v_fmac_f32_e32 v65, v29, v141
	v_mul_f32_e32 v15, v35, v148
	v_fma_f32 v59, v34, v147, -v15
	v_mul_f32_e32 v15, v37, v146
	v_fma_f32 v66, v36, v145, -v15
	v_mul_f32_e32 v64, v34, v148
	v_mul_f32_e32 v70, v36, v146
	v_fmac_f32_e32 v67, v31, v139
	v_fmac_f32_e32 v71, v33, v137
	v_mul_f32_e32 v15, v39, v150
	v_fma_f32 v72, v38, v149, -v15
	v_mul_f32_e32 v73, v38, v150
	v_fmac_f32_e32 v64, v35, v147
	v_mul_f32_e32 v15, v5, v136
	v_fma_f32 v74, v4, v135, -v15
	v_sub_f32_e32 v15, v17, v62
	v_fma_f32 v17, v17, 2.0, -v15
	ds_write2_b64 v158, v[16:17], v[14:15] offset1:11
	v_mul_u32_u24_e32 v14, 22, v51
	v_add_lshl_u32 v159, v14, v52, 3
	v_mad_legacy_u16 v14, v54, 22, v55
	v_lshlrev_b32_e32 v160, 3, v14
	v_mad_legacy_u16 v14, v57, 22, v58
	v_lshlrev_b32_e32 v161, 3, v14
	v_mad_legacy_u16 v14, v53, 22, v56
	v_fmac_f32_e32 v70, v37, v145
	v_fmac_f32_e32 v73, v39, v149
	v_mul_f32_e32 v75, v4, v136
	v_lshlrev_b32_e32 v162, 3, v14
	v_mad_legacy_u16 v14, v61, 22, v47
	v_fmac_f32_e32 v75, v5, v135
	v_sub_f32_e32 v28, v18, v28
	v_sub_f32_e32 v29, v19, v65
	;; [unrolled: 1-line block ×12, first 2 shown]
	v_lshlrev_b32_e32 v163, 3, v14
	v_mad_legacy_u16 v14, v63, 22, v48
	v_fma_f32 v18, v18, 2.0, -v28
	v_fma_f32 v19, v19, 2.0, -v29
	;; [unrolled: 1-line block ×12, first 2 shown]
	v_sub_f32_e32 v4, v44, v74
	v_sub_f32_e32 v5, v45, v75
	v_lshlrev_b32_e32 v164, 3, v14
	ds_write2_b64 v159, v[18:19], v[28:29] offset1:11
	ds_write2_b64 v160, v[20:21], v[30:31] offset1:11
	;; [unrolled: 1-line block ×6, first 2 shown]
	s_and_saveexec_b64 s[4:5], s[2:3]
	s_cbranch_execz .LBB0_11
; %bb.10:
	v_mad_legacy_u16 v14, v156, 22, v157
	v_fma_f32 v13, v45, 2.0, -v5
	v_fma_f32 v12, v44, 2.0, -v4
	v_lshlrev_b32_e32 v14, 3, v14
	ds_write2_b64 v14, v[12:13], v[4:5] offset1:11
.LBB0_11:
	s_or_b64 exec, exec, s[4:5]
	v_lshrrev_b16_e32 v12, 1, v154
	v_and_b32_e32 v12, 0x7f, v12
	v_mul_lo_u16_e32 v12, 0xbb, v12
	v_lshrrev_b16_e32 v63, 11, v12
	v_mul_lo_u16_e32 v12, 22, v63
	v_sub_u16_e32 v12, v154, v12
	v_lshrrev_b32_e32 v65, 20, v46
	v_and_b32_e32 v64, 0xff, v12
	v_mul_lo_u16_e32 v12, 22, v65
	v_mov_b32_e32 v21, 1
	v_sub_u16_e32 v66, v68, v12
	v_lshrrev_b16_sdwa v21, v21, v60 dst_sel:DWORD dst_unused:UNUSED_PAD src0_sel:DWORD src1_sel:BYTE_0
	v_lshlrev_b16_e32 v12, 4, v66
	v_lshrrev_b32_e32 v67, 20, v43
	v_mul_lo_u16_e32 v21, 0xbb, v21
	v_mov_b32_e32 v70, s13
	v_add_co_u32_e32 v12, vcc, s12, v12
	v_mul_lo_u16_e32 v16, 22, v67
	v_lshrrev_b16_e32 v72, 11, v21
	v_addc_co_u32_e32 v13, vcc, 0, v70, vcc
	v_sub_u16_e32 v71, v41, v16
	v_lshlrev_b32_e32 v20, 4, v64
	v_mul_lo_u16_e32 v21, 22, v72
	s_waitcnt lgkmcnt(0)
	s_barrier
	global_load_dwordx4 v[12:15], v[12:13], off offset:88
	v_lshlrev_b16_e32 v16, 4, v71
	global_load_dwordx4 v[28:31], v20, s[12:13] offset:88
	v_sub_u16_e32 v20, v60, v21
	v_add_co_u32_e32 v16, vcc, s12, v16
	v_and_b32_e32 v73, 0xff, v20
	v_addc_co_u32_e32 v17, vcc, 0, v70, vcc
	v_lshlrev_b32_e32 v20, 4, v73
	v_lshrrev_b32_e32 v74, 20, v42
	global_load_dwordx4 v[16:19], v[16:17], off offset:88
	ds_read2_b64 v[32:35], v153 offset1:110
	global_load_dwordx4 v[24:27], v20, s[12:13] offset:88
	v_mul_lo_u16_e32 v20, 22, v74
	v_sub_u16_e32 v75, v40, v20
	v_lshlrev_b16_e32 v20, 4, v75
	v_add_co_u32_e32 v20, vcc, s12, v20
	v_addc_co_u32_e32 v21, vcc, 0, v70, vcc
	global_load_dwordx4 v[20:23], v[20:21], off offset:88
	v_add_u32_e32 v90, 0xc00, v153
	v_add_u32_e32 v93, 0x2000, v153
	;; [unrolled: 1-line block ×6, first 2 shown]
	ds_read_b64 v[61:62], v153 offset:12320
	ds_read2_b64 v[36:39], v90 offset0:56 offset1:166
	ds_read2_b64 v[40:43], v91 offset0:20 offset1:130
	;; [unrolled: 1-line block ×6, first 2 shown]
	v_mul_u32_u24_e32 v63, 0x42, v63
	v_add_lshl_u32 v166, v63, v64, 3
	s_waitcnt vmcnt(0) lgkmcnt(0)
	s_barrier
	s_movk_i32 s18, 0x42
	s_movk_i32 s4, 0xffbe
	v_mul_f32_e32 v76, v43, v13
	v_mul_f32_e32 v77, v42, v13
	;; [unrolled: 1-line block ×3, first 2 shown]
	v_fma_f32 v76, v42, v12, -v76
	v_mul_f32_e32 v42, v39, v29
	v_mul_f32_e32 v79, v48, v15
	v_fmac_f32_e32 v77, v43, v12
	v_fma_f32 v78, v48, v14, -v78
	v_mul_f32_e32 v43, v38, v29
	v_mul_f32_e32 v48, v45, v31
	v_fma_f32 v42, v38, v28, -v42
	v_mul_f32_e32 v81, v56, v17
	v_mul_f32_e32 v38, v51, v19
	;; [unrolled: 1-line block ×3, first 2 shown]
	v_fmac_f32_e32 v79, v49, v14
	v_mul_f32_e32 v49, v44, v31
	v_fma_f32 v44, v44, v30, -v48
	v_fmac_f32_e32 v81, v57, v16
	v_fma_f32 v57, v50, v18, -v38
	v_fmac_f32_e32 v43, v39, v28
	v_add_f32_e32 v39, v42, v44
	v_mul_f32_e32 v38, v59, v21
	v_fma_f32 v85, v58, v20, -v38
	v_mul_f32_e32 v38, v62, v23
	v_fma_f32 v80, v56, v16, -v80
	v_mul_f32_e32 v56, v41, v25
	v_mul_f32_e32 v82, v40, v25
	v_fmac_f32_e32 v49, v45, v30
	v_fma_f32 v87, v61, v22, -v38
	v_add_f32_e32 v38, v32, v42
	v_fma_f32 v32, -0.5, v39, v32
	v_mul_f32_e32 v83, v47, v27
	v_fma_f32 v45, v40, v24, -v56
	v_fmac_f32_e32 v82, v41, v24
	v_sub_f32_e32 v39, v43, v49
	v_mov_b32_e32 v40, v32
	v_add_f32_e32 v41, v43, v49
	v_mul_f32_e32 v84, v46, v27
	v_fma_f32 v46, v46, v26, -v83
	v_fmac_f32_e32 v40, 0x3f5db3d7, v39
	v_fmac_f32_e32 v32, 0xbf5db3d7, v39
	v_add_f32_e32 v39, v33, v43
	v_fma_f32 v33, -0.5, v41, v33
	v_sub_f32_e32 v42, v42, v44
	v_mov_b32_e32 v41, v33
	v_add_f32_e32 v43, v45, v46
	v_fmac_f32_e32 v84, v47, v26
	v_fmac_f32_e32 v41, 0xbf5db3d7, v42
	;; [unrolled: 1-line block ×3, first 2 shown]
	v_add_f32_e32 v42, v34, v45
	v_fma_f32 v34, -0.5, v43, v34
	v_add_f32_e32 v38, v38, v44
	v_sub_f32_e32 v43, v82, v84
	v_mov_b32_e32 v44, v34
	v_add_f32_e32 v47, v82, v84
	v_add_f32_e32 v39, v39, v49
	v_fmac_f32_e32 v44, 0x3f5db3d7, v43
	v_fmac_f32_e32 v34, 0xbf5db3d7, v43
	v_add_f32_e32 v43, v35, v82
	v_fmac_f32_e32 v35, -0.5, v47
	v_add_f32_e32 v47, v76, v78
	v_fma_f32 v48, -0.5, v47, v52
	v_add_f32_e32 v49, v77, v79
	ds_write2_b64 v166, v[38:39], v[40:41] offset1:22
	ds_write_b64 v166, v[32:33] offset:352
	v_mul_u32_u24_e32 v32, 0x42, v72
	v_mul_f32_e32 v83, v50, v19
	v_add_f32_e32 v42, v42, v46
	v_sub_f32_e32 v46, v45, v46
	v_mov_b32_e32 v45, v35
	v_sub_f32_e32 v47, v77, v79
	v_mov_b32_e32 v50, v48
	v_fma_f32 v49, -0.5, v49, v53
	v_add_lshl_u32 v167, v32, v73, 3
	v_mad_legacy_u16 v32, v65, s18, v66
	v_fmac_f32_e32 v83, v51, v18
	v_fmac_f32_e32 v45, 0xbf5db3d7, v46
	;; [unrolled: 1-line block ×3, first 2 shown]
	v_add_f32_e32 v46, v52, v76
	v_fmac_f32_e32 v50, 0x3f5db3d7, v47
	v_fmac_f32_e32 v48, 0xbf5db3d7, v47
	v_add_f32_e32 v47, v53, v77
	v_sub_f32_e32 v52, v76, v78
	v_mov_b32_e32 v51, v49
	v_add_f32_e32 v53, v80, v57
	v_lshlrev_b32_e32 v168, 3, v32
	v_mad_legacy_u16 v32, v67, s18, v71
	v_fmac_f32_e32 v51, 0xbf5db3d7, v52
	v_fmac_f32_e32 v49, 0x3f5db3d7, v52
	v_add_f32_e32 v52, v54, v80
	v_fma_f32 v54, -0.5, v53, v54
	v_lshlrev_b32_e32 v169, 3, v32
	v_mad_legacy_u16 v32, v74, s18, v75
	v_mul_f32_e32 v86, v58, v21
	v_sub_f32_e32 v53, v81, v83
	v_mov_b32_e32 v56, v54
	v_add_f32_e32 v58, v81, v83
	v_lshlrev_b32_e32 v170, 3, v32
	v_add_co_u32_e32 v32, vcc, s4, v154
	v_fmac_f32_e32 v56, 0x3f5db3d7, v53
	v_fmac_f32_e32 v54, 0xbf5db3d7, v53
	v_add_f32_e32 v53, v55, v81
	v_fmac_f32_e32 v55, -0.5, v58
	v_addc_co_u32_e64 v33, s[4:5], 0, -1, vcc
	v_fmac_f32_e32 v86, v59, v20
	v_mul_f32_e32 v88, v61, v23
	v_add_f32_e32 v52, v52, v57
	v_sub_f32_e32 v58, v80, v57
	v_mov_b32_e32 v57, v55
	v_add_f32_e32 v59, v85, v87
	v_cmp_gt_u16_e32 vcc, s18, v154
	s_movk_i32 s4, 0xf9
	v_fmac_f32_e32 v88, v62, v22
	v_fmac_f32_e32 v57, 0xbf5db3d7, v58
	;; [unrolled: 1-line block ×3, first 2 shown]
	v_add_f32_e32 v58, v36, v85
	v_fma_f32 v36, -0.5, v59, v36
	v_cndmask_b32_e64 v66, v33, 0, vcc
	v_cndmask_b32_e32 v65, v32, v154, vcc
	v_mul_lo_u16_sdwa v40, v60, s4 dst_sel:DWORD dst_unused:UNUSED_PAD src0_sel:BYTE_0 src1_sel:DWORD
	v_sub_f32_e32 v59, v86, v88
	v_mov_b32_e32 v61, v36
	v_add_f32_e32 v62, v86, v88
	v_lshlrev_b64 v[32:33], 5, v[65:66]
	v_lshrrev_b16_e32 v89, 14, v40
	v_fmac_f32_e32 v61, 0x3f5db3d7, v59
	v_fmac_f32_e32 v36, 0xbf5db3d7, v59
	v_add_f32_e32 v59, v37, v86
	v_fmac_f32_e32 v37, -0.5, v62
	v_mul_lo_u16_e32 v40, 0x42, v89
	v_sub_f32_e32 v76, v85, v87
	v_mov_b32_e32 v62, v37
	v_add_co_u32_e32 v32, vcc, s12, v32
	v_sub_u16_e32 v40, v60, v40
	v_add_f32_e32 v43, v43, v84
	v_add_f32_e32 v46, v46, v78
	v_add_f32_e32 v47, v47, v79
	v_add_f32_e32 v53, v53, v83
	v_add_f32_e32 v58, v58, v87
	v_add_f32_e32 v59, v59, v88
	v_fmac_f32_e32 v62, 0xbf5db3d7, v76
	v_fmac_f32_e32 v37, 0x3f5db3d7, v76
	v_addc_co_u32_e32 v33, vcc, v70, v33, vcc
	v_and_b32_e32 v100, 0xff, v40
	ds_write2_b64 v167, v[42:43], v[44:45] offset1:22
	ds_write_b64 v167, v[34:35] offset:352
	ds_write2_b64 v168, v[46:47], v[50:51] offset1:22
	ds_write_b64 v168, v[48:49] offset:352
	;; [unrolled: 2-line block ×4, first 2 shown]
	s_waitcnt lgkmcnt(0)
	s_barrier
	global_load_dwordx4 v[36:39], v[32:33], off offset:440
	s_nop 0
	global_load_dwordx4 v[32:35], v[32:33], off offset:456
	v_lshlrev_b32_e32 v48, 5, v100
	s_mov_b32 s4, 0xf83f
	global_load_dwordx4 v[44:47], v48, s[12:13] offset:440
	global_load_dwordx4 v[40:43], v48, s[12:13] offset:456
	v_mul_u32_u24_sdwa v48, v68, s4 dst_sel:DWORD dst_unused:UNUSED_PAD src0_sel:WORD_0 src1_sel:DWORD
	v_lshrrev_b32_e32 v101, 22, v48
	v_mul_lo_u16_e32 v48, 0x42, v101
	v_sub_u16_e32 v102, v68, v48
	v_lshlrev_b16_e32 v48, 5, v102
	v_add_co_u32_e32 v48, vcc, s12, v48
	v_addc_co_u32_e32 v49, vcc, 0, v70, vcc
	global_load_dwordx4 v[52:55], v[48:49], off offset:440
	s_nop 0
	global_load_dwordx4 v[48:51], v[48:49], off offset:456
	ds_read2_b64 v[56:59], v153 offset1:110
	ds_read2_b64 v[61:64], v95 offset0:92 offset1:202
	ds_read2_b64 v[71:74], v91 offset0:20 offset1:130
	;; [unrolled: 1-line block ×6, first 2 shown]
	ds_read_b64 v[66:67], v153 offset:12320
	s_movk_i32 s4, 0x41
	v_cmp_lt_u16_e32 vcc, s4, v154
	s_waitcnt vmcnt(0) lgkmcnt(0)
	s_barrier
	v_lshlrev_b32_e32 v60, 5, v60
	v_lshlrev_b64 v[68:69], 5, v[68:69]
	s_movk_i32 s5, 0x3000
	s_movk_i32 s4, 0x3390
	v_mul_f32_e32 v87, v64, v37
	v_fma_f32 v87, v63, v36, -v87
	v_mul_f32_e32 v88, v63, v37
	v_mul_f32_e32 v63, v72, v39
	v_fma_f32 v103, v71, v38, -v63
	v_mul_f32_e32 v63, v78, v33
	;; [unrolled: 3-line block ×3, first 2 shown]
	v_mul_f32_e32 v63, v80, v35
	v_fmac_f32_e32 v104, v72, v38
	v_fmac_f32_e32 v77, v78, v32
	v_fma_f32 v72, v79, v34, -v63
	v_mul_f32_e32 v78, v79, v35
	v_mul_f32_e32 v63, v84, v45
	v_fmac_f32_e32 v78, v80, v34
	v_fma_f32 v80, v83, v44, -v63
	v_mul_f32_e32 v83, v83, v45
	v_mul_f32_e32 v63, v74, v47
	v_fmac_f32_e32 v83, v84, v44
	v_fma_f32 v84, v73, v46, -v63
	v_mul_f32_e32 v63, v97, v41
	v_fma_f32 v107, v96, v40, -v63
	v_mul_f32_e32 v96, v96, v41
	v_mul_f32_e32 v63, v82, v43
	v_fmac_f32_e32 v96, v97, v40
	v_fma_f32 v97, v81, v42, -v63
	v_mul_f32_e32 v63, v86, v53
	v_fma_f32 v152, v85, v52, -v63
	v_mul_f32_e32 v63, v76, v55
	;; [unrolled: 2-line block ×3, first 2 shown]
	v_fmac_f32_e32 v88, v64, v36
	v_fma_f32 v174, v98, v48, -v63
	v_mul_f32_e32 v98, v98, v49
	v_mul_f32_e32 v63, v67, v51
	v_add_f32_e32 v64, v103, v105
	v_fmac_f32_e32 v98, v99, v48
	v_fma_f32 v99, v66, v50, -v63
	v_mul_f32_e32 v175, v66, v51
	v_fma_f32 v66, -0.5, v64, v56
	v_mul_f32_e32 v106, v73, v47
	v_sub_f32_e32 v64, v88, v78
	v_mov_b32_e32 v71, v66
	v_fmac_f32_e32 v106, v74, v46
	v_fmac_f32_e32 v175, v67, v50
	;; [unrolled: 1-line block ×3, first 2 shown]
	v_sub_f32_e32 v67, v104, v77
	v_sub_f32_e32 v73, v87, v103
	;; [unrolled: 1-line block ×3, first 2 shown]
	v_fmac_f32_e32 v66, 0xbf737871, v64
	v_fmac_f32_e32 v71, 0x3f167918, v67
	v_add_f32_e32 v73, v73, v74
	v_fmac_f32_e32 v66, 0xbf167918, v67
	v_fmac_f32_e32 v71, 0x3e9e377a, v73
	;; [unrolled: 1-line block ×3, first 2 shown]
	v_add_f32_e32 v73, v87, v72
	v_add_f32_e32 v63, v56, v87
	v_fma_f32 v56, -0.5, v73, v56
	v_mov_b32_e32 v73, v56
	v_add_f32_e32 v63, v63, v103
	v_fmac_f32_e32 v73, 0xbf737871, v67
	v_fmac_f32_e32 v56, 0x3f737871, v67
	v_add_f32_e32 v67, v104, v77
	v_mul_f32_e32 v173, v75, v55
	v_add_f32_e32 v63, v63, v105
	v_sub_f32_e32 v74, v103, v87
	v_sub_f32_e32 v75, v105, v72
	v_fma_f32 v67, -0.5, v67, v57
	v_add_f32_e32 v63, v63, v72
	v_fmac_f32_e32 v73, 0x3f167918, v64
	v_add_f32_e32 v74, v74, v75
	v_fmac_f32_e32 v56, 0xbf167918, v64
	v_sub_f32_e32 v75, v87, v72
	v_mov_b32_e32 v72, v67
	v_fmac_f32_e32 v173, v76, v54
	v_fmac_f32_e32 v73, 0x3e9e377a, v74
	;; [unrolled: 1-line block ×4, first 2 shown]
	v_sub_f32_e32 v76, v103, v105
	v_sub_f32_e32 v74, v88, v104
	;; [unrolled: 1-line block ×3, first 2 shown]
	v_fmac_f32_e32 v67, 0x3f737871, v75
	v_fmac_f32_e32 v72, 0xbf167918, v76
	v_add_f32_e32 v74, v74, v79
	v_fmac_f32_e32 v67, 0x3f167918, v76
	v_fmac_f32_e32 v72, 0x3e9e377a, v74
	;; [unrolled: 1-line block ×3, first 2 shown]
	v_add_f32_e32 v74, v88, v78
	v_add_f32_e32 v64, v57, v88
	v_fma_f32 v57, -0.5, v74, v57
	v_add_f32_e32 v64, v64, v104
	v_mov_b32_e32 v74, v57
	v_add_f32_e32 v64, v64, v77
	v_fmac_f32_e32 v74, 0x3f737871, v76
	v_sub_f32_e32 v79, v104, v88
	v_sub_f32_e32 v77, v77, v78
	v_fmac_f32_e32 v57, 0xbf737871, v76
	v_mul_f32_e32 v151, v81, v43
	v_fmac_f32_e32 v74, 0xbf167918, v75
	v_add_f32_e32 v77, v79, v77
	v_fmac_f32_e32 v57, 0x3f167918, v75
	v_add_f32_e32 v76, v84, v107
	v_fmac_f32_e32 v151, v82, v42
	v_fmac_f32_e32 v74, 0x3e9e377a, v77
	;; [unrolled: 1-line block ×3, first 2 shown]
	v_fma_f32 v77, -0.5, v76, v58
	v_sub_f32_e32 v76, v83, v151
	v_mov_b32_e32 v79, v77
	v_add_f32_e32 v64, v64, v78
	v_fmac_f32_e32 v79, 0x3f737871, v76
	v_sub_f32_e32 v78, v106, v96
	v_sub_f32_e32 v81, v80, v84
	;; [unrolled: 1-line block ×3, first 2 shown]
	v_fmac_f32_e32 v77, 0xbf737871, v76
	v_fmac_f32_e32 v79, 0x3f167918, v78
	v_add_f32_e32 v81, v81, v82
	v_fmac_f32_e32 v77, 0xbf167918, v78
	v_fmac_f32_e32 v79, 0x3e9e377a, v81
	;; [unrolled: 1-line block ×3, first 2 shown]
	v_add_f32_e32 v81, v80, v97
	v_add_f32_e32 v75, v58, v80
	v_fma_f32 v58, -0.5, v81, v58
	v_mov_b32_e32 v81, v58
	v_fmac_f32_e32 v81, 0xbf737871, v78
	v_fmac_f32_e32 v58, 0x3f737871, v78
	v_add_f32_e32 v78, v106, v96
	v_mul_f32_e32 v171, v85, v53
	v_sub_f32_e32 v82, v84, v80
	v_sub_f32_e32 v85, v107, v97
	v_fma_f32 v78, -0.5, v78, v59
	v_fmac_f32_e32 v81, 0x3f167918, v76
	v_add_f32_e32 v82, v82, v85
	v_fmac_f32_e32 v58, 0xbf167918, v76
	v_sub_f32_e32 v85, v80, v97
	v_mov_b32_e32 v80, v78
	v_fmac_f32_e32 v171, v86, v52
	v_add_f32_e32 v75, v75, v84
	v_fmac_f32_e32 v81, 0x3e9e377a, v82
	v_fmac_f32_e32 v58, 0x3e9e377a, v82
	;; [unrolled: 1-line block ×3, first 2 shown]
	v_sub_f32_e32 v84, v84, v107
	v_sub_f32_e32 v82, v83, v106
	;; [unrolled: 1-line block ×3, first 2 shown]
	v_fmac_f32_e32 v78, 0x3f737871, v85
	v_fmac_f32_e32 v80, 0xbf167918, v84
	v_add_f32_e32 v82, v82, v86
	v_fmac_f32_e32 v78, 0x3f167918, v84
	v_fmac_f32_e32 v80, 0x3e9e377a, v82
	;; [unrolled: 1-line block ×3, first 2 shown]
	v_add_f32_e32 v82, v83, v151
	v_add_f32_e32 v76, v59, v83
	v_fmac_f32_e32 v59, -0.5, v82
	v_mov_b32_e32 v82, v59
	v_fmac_f32_e32 v82, 0x3f737871, v84
	v_fmac_f32_e32 v59, 0xbf737871, v84
	v_add_f32_e32 v84, v172, v174
	v_fmac_f32_e32 v82, 0xbf167918, v85
	v_fmac_f32_e32 v59, 0x3f167918, v85
	v_fma_f32 v85, -0.5, v84, v61
	v_add_f32_e32 v76, v76, v106
	v_sub_f32_e32 v83, v106, v83
	v_sub_f32_e32 v86, v96, v151
	v_sub_f32_e32 v84, v171, v175
	v_mov_b32_e32 v87, v85
	v_add_f32_e32 v76, v76, v96
	v_add_f32_e32 v83, v83, v86
	v_fmac_f32_e32 v87, 0x3f737871, v84
	v_sub_f32_e32 v86, v173, v98
	v_sub_f32_e32 v88, v152, v172
	;; [unrolled: 1-line block ×3, first 2 shown]
	v_fmac_f32_e32 v85, 0xbf737871, v84
	v_fmac_f32_e32 v87, 0x3f167918, v86
	v_add_f32_e32 v88, v88, v96
	v_fmac_f32_e32 v85, 0xbf167918, v86
	v_fmac_f32_e32 v87, 0x3e9e377a, v88
	;; [unrolled: 1-line block ×3, first 2 shown]
	v_add_f32_e32 v88, v152, v99
	v_fmac_f32_e32 v82, 0x3e9e377a, v83
	v_fmac_f32_e32 v59, 0x3e9e377a, v83
	v_add_f32_e32 v83, v61, v152
	v_fma_f32 v61, -0.5, v88, v61
	v_add_f32_e32 v75, v75, v107
	v_mov_b32_e32 v96, v61
	v_add_f32_e32 v75, v75, v97
	v_add_f32_e32 v83, v83, v172
	v_fmac_f32_e32 v96, 0xbf737871, v86
	v_sub_f32_e32 v88, v172, v152
	v_sub_f32_e32 v97, v174, v99
	v_fmac_f32_e32 v61, 0x3f737871, v86
	v_add_f32_e32 v86, v173, v98
	v_add_f32_e32 v83, v83, v174
	v_fmac_f32_e32 v96, 0x3f167918, v84
	v_add_f32_e32 v88, v88, v97
	v_fmac_f32_e32 v61, 0xbf167918, v84
	v_fma_f32 v86, -0.5, v86, v62
	v_add_f32_e32 v83, v83, v99
	v_fmac_f32_e32 v96, 0x3e9e377a, v88
	v_fmac_f32_e32 v61, 0x3e9e377a, v88
	v_sub_f32_e32 v99, v152, v99
	v_mov_b32_e32 v88, v86
	v_fmac_f32_e32 v88, 0xbf737871, v99
	v_sub_f32_e32 v103, v172, v174
	v_sub_f32_e32 v97, v171, v173
	;; [unrolled: 1-line block ×3, first 2 shown]
	v_fmac_f32_e32 v86, 0x3f737871, v99
	v_fmac_f32_e32 v88, 0xbf167918, v103
	v_add_f32_e32 v97, v97, v104
	v_fmac_f32_e32 v86, 0x3f167918, v103
	v_fmac_f32_e32 v88, 0x3e9e377a, v97
	;; [unrolled: 1-line block ×3, first 2 shown]
	v_add_f32_e32 v97, v171, v175
	v_add_f32_e32 v84, v62, v171
	v_fmac_f32_e32 v62, -0.5, v97
	v_add_f32_e32 v84, v84, v173
	v_mov_b32_e32 v97, v62
	v_add_f32_e32 v84, v84, v98
	v_fmac_f32_e32 v97, 0x3f737871, v103
	v_sub_f32_e32 v104, v173, v171
	v_sub_f32_e32 v98, v98, v175
	v_fmac_f32_e32 v62, 0xbf737871, v103
	v_fmac_f32_e32 v97, 0xbf167918, v99
	v_add_f32_e32 v98, v104, v98
	v_fmac_f32_e32 v62, 0x3f167918, v99
	v_fmac_f32_e32 v97, 0x3e9e377a, v98
	;; [unrolled: 1-line block ×3, first 2 shown]
	v_mov_b32_e32 v98, 0x14a
	v_cndmask_b32_e32 v98, 0, v98, vcc
	v_add_lshl_u32 v171, v65, v98, 3
	ds_write2_b64 v171, v[63:64], v[71:72] offset1:66
	ds_write2_b64 v171, v[73:74], v[56:57] offset0:132 offset1:198
	ds_write_b64 v171, v[66:67] offset:2112
	v_mul_u32_u24_e32 v56, 0x14a, v89
	v_add_lshl_u32 v172, v56, v100, 3
	v_mad_legacy_u16 v56, v101, s16, v102
	v_add_f32_e32 v76, v76, v151
	v_add_f32_e32 v84, v84, v175
	v_lshlrev_b32_e32 v173, 3, v56
	v_lshlrev_b32_e32 v56, 5, v154
	ds_write2_b64 v172, v[75:76], v[79:80] offset1:66
	ds_write2_b64 v172, v[81:82], v[58:59] offset0:132 offset1:198
	ds_write_b64 v172, v[77:78] offset:2112
	ds_write2_b64 v173, v[83:84], v[87:88] offset1:66
	ds_write2_b64 v173, v[96:97], v[61:62] offset0:132 offset1:198
	ds_write_b64 v173, v[85:86] offset:2112
	s_waitcnt lgkmcnt(0)
	s_barrier
	global_load_dwordx4 v[64:67], v56, s[12:13] offset:2552
	s_nop 0
	global_load_dwordx4 v[56:59], v56, s[12:13] offset:2568
	s_nop 0
	;; [unrolled: 2-line block ×3, first 2 shown]
	global_load_dwordx4 v[60:63], v60, s[12:13] offset:2568
	v_add_co_u32_e32 v68, vcc, s12, v68
	v_addc_co_u32_e32 v69, vcc, v70, v69, vcc
	global_load_dwordx4 v[76:79], v[68:69], off offset:2552
	s_nop 0
	global_load_dwordx4 v[68:71], v[68:69], off offset:2568
	ds_read2_b64 v[80:83], v95 offset0:92 offset1:202
	ds_read2_b64 v[84:87], v91 offset0:20 offset1:130
	;; [unrolled: 1-line block ×6, first 2 shown]
	s_waitcnt vmcnt(5) lgkmcnt(4)
	v_mul_f32_e32 v88, v85, v67
	v_fma_f32 v151, v84, v66, -v88
	v_mul_f32_e32 v152, v84, v67
	s_waitcnt vmcnt(4) lgkmcnt(3)
	v_mul_f32_e32 v84, v99, v57
	v_fma_f32 v178, v98, v56, -v84
	s_waitcnt vmcnt(3)
	v_mul_f32_e32 v84, v87, v75
	v_mul_f32_e32 v179, v98, v57
	v_fma_f32 v180, v86, v74, -v84
	s_waitcnt lgkmcnt(2)
	v_mul_f32_e32 v84, v101, v59
	v_fmac_f32_e32 v179, v99, v56
	v_fma_f32 v99, v100, v58, -v84
	s_waitcnt vmcnt(2)
	v_mul_f32_e32 v84, v103, v63
	v_mul_f32_e32 v181, v86, v75
	v_fma_f32 v183, v102, v62, -v84
	s_waitcnt lgkmcnt(1)
	v_mul_f32_e32 v84, v105, v73
	v_fmac_f32_e32 v181, v87, v74
	v_fma_f32 v185, v104, v72, -v84
	s_waitcnt vmcnt(1)
	v_mul_f32_e32 v84, v107, v77
	ds_read2_b64 v[86:89], v153 offset1:110
	v_fma_f32 v187, v106, v76, -v84
	v_mul_f32_e32 v188, v106, v77
	s_waitcnt lgkmcnt(1)
	v_mul_f32_e32 v84, v175, v61
	v_fmac_f32_e32 v188, v107, v76
	v_fma_f32 v107, v174, v60, -v84
	v_mul_f32_e32 v84, v97, v79
	v_fma_f32 v189, v96, v78, -v84
	s_waitcnt vmcnt(0)
	v_mul_f32_e32 v84, v177, v69
	v_mul_f32_e32 v182, v100, v59
	v_fma_f32 v191, v176, v68, -v84
	v_mul_f32_e32 v84, v83, v65
	v_fmac_f32_e32 v182, v101, v58
	v_mul_f32_e32 v186, v104, v73
	v_fma_f32 v101, v82, v64, -v84
	s_waitcnt lgkmcnt(0)
	v_add_f32_e32 v84, v88, v185
	v_mul_f32_e32 v184, v102, v63
	v_fmac_f32_e32 v186, v105, v72
	v_add_f32_e32 v84, v84, v180
	v_fmac_f32_e32 v184, v103, v62
	v_mul_f32_e32 v190, v96, v79
	v_mul_f32_e32 v103, v82, v65
	v_add_f32_e32 v96, v84, v107
	v_add_f32_e32 v84, v89, v186
	v_fmac_f32_e32 v152, v85, v66
	v_fmac_f32_e32 v190, v97, v78
	v_fmac_f32_e32 v103, v83, v64
	v_add_f32_e32 v97, v84, v181
	ds_read_b64 v[84:85], v153 offset:12320
	v_mul_f32_e32 v174, v174, v61
	v_add_f32_e32 v82, v86, v101
	v_add_f32_e32 v83, v87, v103
	v_fmac_f32_e32 v174, v175, v60
	v_add_f32_e32 v82, v82, v151
	v_add_f32_e32 v83, v83, v152
	;; [unrolled: 1-line block ×9, first 2 shown]
	v_mul_f32_e32 v176, v176, v69
	ds_write2_b64 v153, v[82:83], v[96:97] offset1:110
	s_waitcnt lgkmcnt(1)
	v_mul_f32_e32 v82, v85, v71
	v_fmac_f32_e32 v176, v177, v68
	v_fma_f32 v177, v84, v70, -v82
	v_sub_f32_e32 v82, v101, v151
	v_sub_f32_e32 v83, v99, v178
	v_add_f32_e32 v82, v82, v83
	v_add_f32_e32 v83, v151, v178
	v_fma_f32 v96, -0.5, v83, v86
	v_sub_f32_e32 v83, v103, v182
	v_mov_b32_e32 v98, v96
	v_mul_f32_e32 v192, v84, v71
	v_fmac_f32_e32 v98, 0x3f737871, v83
	v_sub_f32_e32 v84, v152, v179
	v_fmac_f32_e32 v96, 0xbf737871, v83
	v_fmac_f32_e32 v98, 0x3f167918, v84
	;; [unrolled: 1-line block ×6, first 2 shown]
	v_sub_f32_e32 v82, v151, v101
	v_sub_f32_e32 v85, v178, v99
	v_add_f32_e32 v82, v82, v85
	v_add_f32_e32 v85, v101, v99
	v_fma_f32 v100, -0.5, v85, v86
	v_mov_b32_e32 v102, v100
	v_fmac_f32_e32 v102, 0xbf737871, v84
	v_fmac_f32_e32 v100, 0x3f737871, v84
	;; [unrolled: 1-line block ×6, first 2 shown]
	v_add_f32_e32 v82, v152, v179
	v_fma_f32 v97, -0.5, v82, v87
	v_sub_f32_e32 v82, v101, v99
	v_mov_b32_e32 v99, v97
	v_sub_f32_e32 v83, v151, v178
	v_sub_f32_e32 v84, v103, v152
	;; [unrolled: 1-line block ×3, first 2 shown]
	v_fmac_f32_e32 v99, 0xbf737871, v82
	v_fmac_f32_e32 v97, 0x3f737871, v82
	v_add_f32_e32 v84, v84, v85
	v_fmac_f32_e32 v99, 0xbf167918, v83
	v_fmac_f32_e32 v97, 0x3f167918, v83
	;; [unrolled: 1-line block ×4, first 2 shown]
	v_add_f32_e32 v84, v103, v182
	v_fma_f32 v101, -0.5, v84, v87
	v_sub_f32_e32 v84, v152, v103
	v_mov_b32_e32 v103, v101
	v_fmac_f32_e32 v103, 0x3f737871, v83
	v_fmac_f32_e32 v101, 0xbf737871, v83
	v_fmac_f32_e32 v103, 0xbf167918, v82
	v_fmac_f32_e32 v101, 0x3f167918, v82
	v_sub_f32_e32 v82, v185, v180
	v_sub_f32_e32 v83, v183, v107
	v_add_f32_e32 v82, v82, v83
	v_add_f32_e32 v83, v180, v107
	v_sub_f32_e32 v85, v179, v182
	v_fma_f32 v104, -0.5, v83, v88
	v_add_f32_e32 v84, v84, v85
	v_sub_f32_e32 v83, v186, v184
	v_mov_b32_e32 v106, v104
	v_fmac_f32_e32 v103, 0x3e9e377a, v84
	v_fmac_f32_e32 v101, 0x3e9e377a, v84
	;; [unrolled: 1-line block ×3, first 2 shown]
	v_sub_f32_e32 v84, v181, v174
	v_fmac_f32_e32 v104, 0xbf737871, v83
	v_fmac_f32_e32 v106, 0x3f167918, v84
	v_fmac_f32_e32 v104, 0xbf167918, v84
	v_fmac_f32_e32 v106, 0x3e9e377a, v82
	v_fmac_f32_e32 v104, 0x3e9e377a, v82
	v_add_f32_e32 v82, v185, v183
	v_fma_f32 v88, -0.5, v82, v88
	v_mov_b32_e32 v151, v88
	v_sub_f32_e32 v82, v180, v185
	v_sub_f32_e32 v85, v107, v183
	v_fmac_f32_e32 v151, 0xbf737871, v84
	v_fmac_f32_e32 v88, 0x3f737871, v84
	v_add_f32_e32 v82, v82, v85
	v_fmac_f32_e32 v151, 0x3f167918, v83
	v_fmac_f32_e32 v88, 0xbf167918, v83
	v_fmac_f32_e32 v151, 0x3e9e377a, v82
	v_fmac_f32_e32 v88, 0x3e9e377a, v82
	v_add_f32_e32 v82, v181, v174
	v_fma_f32 v105, -0.5, v82, v89
	v_sub_f32_e32 v82, v185, v183
	v_sub_f32_e32 v83, v180, v107
	v_mov_b32_e32 v107, v105
	v_sub_f32_e32 v84, v186, v181
	v_sub_f32_e32 v85, v184, v174
	v_fmac_f32_e32 v107, 0xbf737871, v82
	v_fmac_f32_e32 v105, 0x3f737871, v82
	v_add_f32_e32 v84, v84, v85
	v_fmac_f32_e32 v107, 0xbf167918, v83
	v_fmac_f32_e32 v105, 0x3f167918, v83
	;; [unrolled: 1-line block ×4, first 2 shown]
	v_add_f32_e32 v84, v186, v184
	v_fmac_f32_e32 v89, -0.5, v84
	v_mov_b32_e32 v152, v89
	v_sub_f32_e32 v84, v181, v186
	v_sub_f32_e32 v85, v174, v184
	v_fmac_f32_e32 v152, 0x3f737871, v83
	v_fmac_f32_e32 v89, 0xbf737871, v83
	v_add_f32_e32 v84, v84, v85
	v_fmac_f32_e32 v152, 0xbf167918, v82
	v_fmac_f32_e32 v89, 0x3f167918, v82
	v_add_f32_e32 v82, v189, v191
	v_fmac_f32_e32 v152, 0x3e9e377a, v84
	v_fmac_f32_e32 v89, 0x3e9e377a, v84
	v_fma_f32 v82, -0.5, v82, v80
	v_sub_f32_e32 v83, v187, v189
	v_sub_f32_e32 v84, v177, v191
	v_add_f32_e32 v83, v83, v84
	v_sub_f32_e32 v85, v188, v192
	v_mov_b32_e32 v84, v82
	v_fmac_f32_e32 v84, 0x3f737871, v85
	v_sub_f32_e32 v87, v190, v176
	v_fmac_f32_e32 v82, 0xbf737871, v85
	v_fmac_f32_e32 v84, 0x3f167918, v87
	;; [unrolled: 1-line block ×3, first 2 shown]
	v_add_f32_e32 v86, v187, v177
	v_fmac_f32_e32 v84, 0x3e9e377a, v83
	v_fmac_f32_e32 v82, 0x3e9e377a, v83
	v_add_f32_e32 v83, v80, v187
	v_fma_f32 v80, -0.5, v86, v80
	v_sub_f32_e32 v86, v189, v187
	v_sub_f32_e32 v174, v191, v177
	v_add_f32_e32 v174, v86, v174
	v_mov_b32_e32 v86, v80
	v_fmac_f32_e32 v86, 0xbf737871, v87
	v_fmac_f32_e32 v80, 0x3f737871, v87
	;; [unrolled: 1-line block ×4, first 2 shown]
	v_add_f32_e32 v83, v83, v189
	v_add_f32_e32 v85, v81, v188
	;; [unrolled: 1-line block ×4, first 2 shown]
	v_fmac_f32_e32 v86, 0x3e9e377a, v174
	v_fmac_f32_e32 v80, 0x3e9e377a, v174
	v_add_f32_e32 v85, v85, v176
	v_add_f32_e32 v174, v83, v177
	;; [unrolled: 1-line block ×4, first 2 shown]
	v_fma_f32 v83, -0.5, v83, v81
	v_sub_f32_e32 v85, v188, v190
	v_sub_f32_e32 v87, v192, v176
	;; [unrolled: 1-line block ×3, first 2 shown]
	v_add_f32_e32 v87, v85, v87
	v_mov_b32_e32 v85, v83
	v_sub_f32_e32 v178, v189, v191
	v_fmac_f32_e32 v85, 0xbf737871, v177
	v_fmac_f32_e32 v83, 0x3f737871, v177
	;; [unrolled: 1-line block ×6, first 2 shown]
	v_add_f32_e32 v87, v188, v192
	v_fmac_f32_e32 v81, -0.5, v87
	v_sub_f32_e32 v87, v190, v188
	v_sub_f32_e32 v176, v176, v192
	v_add_f32_e32 v176, v87, v176
	v_mov_b32_e32 v87, v81
	v_fmac_f32_e32 v87, 0x3f737871, v178
	v_fmac_f32_e32 v81, 0xbf737871, v178
	v_mov_b32_e32 v178, s17
	v_addc_co_u32_e64 v182, vcc, 0, v178, s[6:7]
	v_fmac_f32_e32 v87, 0xbf167918, v177
	v_fmac_f32_e32 v81, 0x3f167918, v177
	;; [unrolled: 1-line block ×4, first 2 shown]
	ds_write2_b64 v91, v[102:103], v[151:152] offset0:20 offset1:130
	ds_write2_b64 v92, v[96:97], v[104:105] offset0:40 offset1:150
	;; [unrolled: 1-line block ×6, first 2 shown]
	ds_write_b64 v153, v[82:83] offset:12320
	v_add_co_u32_e32 v88, vcc, s5, v108
	v_addc_co_u32_e32 v89, vcc, 0, v182, vcc
	s_waitcnt lgkmcnt(0)
	s_barrier
	global_load_dwordx2 v[97:98], v[88:89], off offset:912
	v_add_co_u32_e32 v88, vcc, s4, v108
	v_addc_co_u32_e32 v89, vcc, 0, v182, vcc
	global_load_dwordx2 v[99:100], v[88:89], off offset:1200
	global_load_dwordx2 v[101:102], v[88:89], off offset:2400
	;; [unrolled: 1-line block ×3, first 2 shown]
	s_movk_i32 s4, 0x4000
	v_add_co_u32_e32 v93, vcc, s4, v108
	v_addc_co_u32_e32 v94, vcc, 0, v182, vcc
	global_load_dwordx2 v[105:106], v[93:94], off offset:1616
	global_load_dwordx2 v[151:152], v[93:94], off offset:2816
	;; [unrolled: 1-line block ×3, first 2 shown]
	s_movk_i32 s4, 0x5000
	v_add_co_u32_e32 v93, vcc, s4, v108
	v_addc_co_u32_e32 v94, vcc, 0, v182, vcc
	global_load_dwordx2 v[176:177], v[93:94], off offset:1120
	global_load_dwordx2 v[178:179], v[93:94], off offset:2320
	;; [unrolled: 1-line block ×3, first 2 shown]
	v_add_co_u32_e32 v93, vcc, 0x6000, v108
	v_addc_co_u32_e32 v94, vcc, 0, v182, vcc
	global_load_dwordx2 v[182:183], v[93:94], off offset:624
	ds_read2_b64 v[93:96], v153 offset1:150
	s_movk_i32 s6, 0x2000
	s_movk_i32 s7, 0x1000
	s_waitcnt vmcnt(10) lgkmcnt(0)
	v_mul_f32_e32 v107, v94, v98
	v_mul_f32_e32 v185, v93, v98
	v_fma_f32 v184, v93, v97, -v107
	v_fmac_f32_e32 v185, v94, v97
	s_waitcnt vmcnt(9)
	v_mul_f32_e32 v93, v96, v100
	v_mul_f32_e32 v94, v95, v100
	v_fma_f32 v93, v95, v99, -v93
	v_fmac_f32_e32 v94, v96, v99
	ds_write2_b64 v153, v[184:185], v[93:94] offset1:150
	v_add_u32_e32 v93, 0x800, v153
	ds_read2_b64 v[94:97], v93 offset0:44 offset1:194
	s_waitcnt vmcnt(8) lgkmcnt(0)
	v_mul_f32_e32 v98, v95, v102
	v_fma_f32 v184, v94, v101, -v98
	v_mul_f32_e32 v185, v94, v102
	v_add_u32_e32 v94, 0x1000, v153
	v_fmac_f32_e32 v185, v95, v101
	ds_read2_b64 v[98:101], v94 offset0:88 offset1:238
	s_waitcnt vmcnt(7)
	v_mul_f32_e32 v95, v97, v104
	v_fma_f32 v95, v96, v103, -v95
	v_mul_f32_e32 v96, v96, v104
	v_fmac_f32_e32 v96, v97, v103
	ds_write2_b64 v93, v[184:185], v[95:96] offset0:44 offset1:194
	s_waitcnt vmcnt(6) lgkmcnt(1)
	v_mul_f32_e32 v95, v99, v106
	v_fma_f32 v102, v98, v105, -v95
	v_mul_f32_e32 v103, v98, v106
	s_waitcnt vmcnt(5)
	v_mul_f32_e32 v96, v101, v152
	v_add_u32_e32 v95, 0x1c00, v153
	v_fmac_f32_e32 v103, v99, v105
	v_fma_f32 v104, v100, v151, -v96
	ds_read2_b64 v[96:99], v95 offset0:4 offset1:154
	v_mul_f32_e32 v105, v100, v152
	v_fmac_f32_e32 v105, v101, v151
	ds_write2_b64 v94, v[102:103], v[104:105] offset0:88 offset1:238
	s_waitcnt vmcnt(4) lgkmcnt(1)
	v_mul_f32_e32 v100, v97, v175
	v_fma_f32 v105, v96, v174, -v100
	v_add_u32_e32 v100, 0x2400, v153
	ds_read2_b64 v[101:104], v100 offset0:48 offset1:198
	v_mul_f32_e32 v106, v96, v175
	v_fmac_f32_e32 v106, v97, v174
	s_waitcnt vmcnt(3)
	v_mul_f32_e32 v96, v99, v177
	v_mul_f32_e32 v97, v98, v177
	v_fma_f32 v96, v98, v176, -v96
	v_fmac_f32_e32 v97, v99, v176
	ds_read_b64 v[98:99], v153 offset:12000
	ds_write2_b64 v95, v[105:106], v[96:97] offset0:4 offset1:154
	s_waitcnt vmcnt(2) lgkmcnt(2)
	v_mul_f32_e32 v96, v102, v179
	v_mul_f32_e32 v97, v101, v179
	v_fma_f32 v96, v101, v178, -v96
	v_fmac_f32_e32 v97, v102, v178
	s_waitcnt vmcnt(1)
	v_mul_f32_e32 v101, v104, v181
	v_mul_f32_e32 v102, v103, v181
	v_fma_f32 v101, v103, v180, -v101
	v_fmac_f32_e32 v102, v104, v180
	ds_write2_b64 v100, v[96:97], v[101:102] offset0:48 offset1:198
	s_waitcnt vmcnt(0) lgkmcnt(2)
	v_mul_f32_e32 v96, v99, v183
	v_mul_f32_e32 v97, v98, v183
	v_fma_f32 v96, v98, v182, -v96
	v_fmac_f32_e32 v97, v99, v182
	ds_write_b64 v153, v[96:97] offset:12000
	s_and_saveexec_b64 s[4:5], s[0:1]
	s_cbranch_execz .LBB0_13
; %bb.12:
	global_load_dwordx2 v[101:102], v[88:89], off offset:880
	global_load_dwordx2 v[103:104], v[88:89], off offset:2080
	v_add_co_u32_e32 v96, vcc, s7, v88
	v_addc_co_u32_e32 v97, vcc, 0, v89, vcc
	v_add_co_u32_e32 v98, vcc, s6, v88
	v_addc_co_u32_e32 v99, vcc, 0, v89, vcc
	global_load_dwordx2 v[105:106], v[88:89], off offset:3280
	global_load_dwordx2 v[151:152], v[96:97], off offset:384
	;; [unrolled: 1-line block ×3, first 2 shown]
	v_add_co_u32_e32 v88, vcc, 0x3000, v88
	v_addc_co_u32_e32 v89, vcc, 0, v89, vcc
	global_load_dwordx2 v[184:185], v[96:97], off offset:2784
	global_load_dwordx2 v[186:187], v[96:97], off offset:3984
	global_load_dwordx2 v[188:189], v[98:99], off offset:1088
	global_load_dwordx2 v[190:191], v[98:99], off offset:2288
	global_load_dwordx2 v[192:193], v[98:99], off offset:3488
	v_add_u32_e32 v107, 0x200, v153
	global_load_dwordx2 v[88:89], v[88:89], off offset:592
	ds_read2_b64 v[96:99], v107 offset0:46 offset1:196
	v_add_u32_e32 v198, 0x1e00, v153
	s_waitcnt vmcnt(10) lgkmcnt(0)
	v_mul_f32_e32 v174, v97, v102
	v_mul_f32_e32 v175, v96, v102
	s_waitcnt vmcnt(9)
	v_mul_f32_e32 v176, v99, v104
	v_mul_f32_e32 v102, v98, v104
	v_fma_f32 v174, v96, v101, -v174
	v_fmac_f32_e32 v175, v97, v101
	v_fma_f32 v101, v98, v103, -v176
	v_fmac_f32_e32 v102, v99, v103
	ds_write2_b64 v107, v[174:175], v[101:102] offset0:46 offset1:196
	ds_read2_b64 v[96:99], v90 offset0:26 offset1:176
	ds_read2_b64 v[101:104], v91 offset0:70 offset1:220
	;; [unrolled: 1-line block ×4, first 2 shown]
	ds_read_b64 v[194:195], v153 offset:12880
	s_waitcnt vmcnt(8) lgkmcnt(4)
	v_mul_f32_e32 v196, v97, v106
	v_mul_f32_e32 v107, v96, v106
	s_waitcnt vmcnt(7)
	v_mul_f32_e32 v199, v99, v152
	v_mul_f32_e32 v197, v98, v152
	s_waitcnt vmcnt(6) lgkmcnt(3)
	v_mul_f32_e32 v200, v102, v183
	v_mul_f32_e32 v152, v101, v183
	s_waitcnt vmcnt(5)
	v_mul_f32_e32 v201, v104, v185
	v_mul_f32_e32 v183, v103, v185
	;; [unrolled: 6-line block ×4, first 2 shown]
	s_waitcnt vmcnt(0) lgkmcnt(0)
	v_mul_f32_e32 v206, v195, v89
	v_mul_f32_e32 v193, v194, v89
	v_fma_f32 v106, v96, v105, -v196
	v_fmac_f32_e32 v107, v97, v105
	v_fma_f32 v196, v98, v151, -v199
	v_fmac_f32_e32 v197, v99, v151
	;; [unrolled: 2-line block ×9, first 2 shown]
	ds_write2_b64 v90, v[106:107], v[196:197] offset0:26 offset1:176
	ds_write2_b64 v91, v[151:152], v[182:183] offset0:70 offset1:220
	;; [unrolled: 1-line block ×4, first 2 shown]
	ds_write_b64 v153, v[192:193] offset:12880
.LBB0_13:
	s_or_b64 exec, exec, s[4:5]
	s_waitcnt lgkmcnt(0)
	s_barrier
	ds_read2_b64 v[104:107], v153 offset1:150
	ds_read2_b64 v[96:99], v93 offset0:44 offset1:194
	ds_read2_b64 v[88:91], v94 offset0:88 offset1:238
	;; [unrolled: 1-line block ×4, first 2 shown]
	ds_read_b64 v[151:152], v153 offset:12000
	s_and_saveexec_b64 s[4:5], s[0:1]
	s_cbranch_execz .LBB0_15
; %bb.14:
	v_add_u32_e32 v0, 0x200, v153
	ds_read2_b64 v[84:87], v0 offset0:46 offset1:196
	v_add_u32_e32 v0, 0xc00, v153
	ds_read2_b64 v[80:83], v0 offset0:26 offset1:176
	;; [unrolled: 2-line block ×5, first 2 shown]
	ds_read_b64 v[133:134], v153 offset:12880
.LBB0_15:
	s_or_b64 exec, exec, s[4:5]
	s_waitcnt lgkmcnt(5)
	v_add_f32_e32 v175, v105, v107
	v_add_f32_e32 v174, v104, v106
	s_waitcnt lgkmcnt(4)
	v_add_f32_e32 v175, v175, v97
	v_add_f32_e32 v174, v174, v96
	v_add_f32_e32 v175, v175, v99
	v_add_f32_e32 v174, v174, v98
	s_waitcnt lgkmcnt(3)
	v_add_f32_e32 v175, v175, v89
	v_add_f32_e32 v174, v174, v88
	;; [unrolled: 5-line block ×5, first 2 shown]
	v_sub_f32_e32 v107, v107, v152
	v_add_f32_e32 v196, v174, v151
	v_add_f32_e32 v174, v151, v106
	v_sub_f32_e32 v106, v106, v151
	v_mul_f32_e32 v151, 0xbf0a6770, v107
	v_mul_f32_e32 v178, 0xbf68dda4, v107
	v_mul_f32_e32 v182, 0xbf7d64f0, v107
	v_mul_f32_e32 v186, 0xbf4178ce, v107
	v_mul_f32_e32 v107, 0xbe903f40, v107
	s_mov_b32 s6, 0x3f575c64
	v_mov_b32_e32 v152, v151
	s_mov_b32 s7, 0x3ed4b147
	v_mov_b32_e32 v179, v178
	;; [unrolled: 2-line block ×5, first 2 shown]
	v_fmac_f32_e32 v152, 0x3f575c64, v174
	v_mul_f32_e32 v176, 0x3f575c64, v175
	v_fma_f32 v151, v174, s6, -v151
	v_fmac_f32_e32 v179, 0x3ed4b147, v174
	v_mul_f32_e32 v180, 0x3ed4b147, v175
	v_fma_f32 v178, v174, s7, -v178
	;; [unrolled: 3-line block ×5, first 2 shown]
	v_add_f32_e32 v152, v104, v152
	v_mov_b32_e32 v177, v176
	v_add_f32_e32 v151, v104, v151
	v_add_f32_e32 v179, v104, v179
	v_mov_b32_e32 v181, v180
	v_add_f32_e32 v178, v104, v178
	;; [unrolled: 3-line block ×5, first 2 shown]
	v_add_f32_e32 v107, v103, v97
	v_sub_f32_e32 v97, v97, v103
	v_fmac_f32_e32 v177, 0x3f0a6770, v106
	v_fmac_f32_e32 v176, 0xbf0a6770, v106
	v_fmac_f32_e32 v181, 0x3f68dda4, v106
	v_fmac_f32_e32 v180, 0xbf68dda4, v106
	v_fmac_f32_e32 v185, 0x3f7d64f0, v106
	v_fmac_f32_e32 v184, 0xbf7d64f0, v106
	v_fmac_f32_e32 v189, 0x3f4178ce, v106
	v_fmac_f32_e32 v188, 0xbf4178ce, v106
	v_fmac_f32_e32 v191, 0x3e903f40, v106
	v_fmac_f32_e32 v175, 0xbe903f40, v106
	v_add_f32_e32 v106, v102, v96
	v_sub_f32_e32 v96, v96, v102
	v_mul_f32_e32 v102, 0xbf68dda4, v97
	v_mov_b32_e32 v103, v102
	v_fmac_f32_e32 v103, 0x3ed4b147, v106
	v_add_f32_e32 v103, v103, v152
	v_mul_f32_e32 v152, 0x3ed4b147, v107
	v_add_f32_e32 v176, v105, v176
	v_mov_b32_e32 v174, v152
	v_fma_f32 v102, v106, s7, -v102
	v_fmac_f32_e32 v152, 0xbf68dda4, v96
	v_add_f32_e32 v102, v102, v151
	v_add_f32_e32 v151, v152, v176
	v_mul_f32_e32 v152, 0xbf4178ce, v97
	v_add_f32_e32 v177, v105, v177
	v_add_f32_e32 v181, v105, v181
	;; [unrolled: 1-line block ×9, first 2 shown]
	v_mov_b32_e32 v175, v152
	v_fma_f32 v152, v106, s13, -v152
	v_fmac_f32_e32 v174, 0x3f68dda4, v96
	v_fmac_f32_e32 v175, 0xbf27a4f4, v106
	v_mul_f32_e32 v176, 0xbf27a4f4, v107
	v_add_f32_e32 v152, v152, v178
	v_mul_f32_e32 v178, 0x3e903f40, v97
	v_add_f32_e32 v174, v174, v177
	v_add_f32_e32 v175, v175, v179
	v_mov_b32_e32 v177, v176
	v_fmac_f32_e32 v176, 0xbf4178ce, v96
	v_mov_b32_e32 v179, v178
	v_fma_f32 v178, v106, s16, -v178
	v_fmac_f32_e32 v177, 0x3f4178ce, v96
	v_add_f32_e32 v176, v176, v180
	v_fmac_f32_e32 v179, 0xbf75a155, v106
	v_mul_f32_e32 v180, 0xbf75a155, v107
	v_add_f32_e32 v178, v178, v182
	v_mul_f32_e32 v182, 0x3f7d64f0, v97
	v_add_f32_e32 v177, v177, v181
	v_add_f32_e32 v179, v179, v183
	v_mov_b32_e32 v181, v180
	v_fmac_f32_e32 v180, 0x3e903f40, v96
	v_mov_b32_e32 v183, v182
	v_fmac_f32_e32 v181, 0xbe903f40, v96
	v_add_f32_e32 v180, v180, v184
	v_fmac_f32_e32 v183, 0xbe11bafb, v106
	v_mul_f32_e32 v184, 0xbe11bafb, v107
	v_mul_f32_e32 v107, 0x3f575c64, v107
	v_add_f32_e32 v181, v181, v185
	v_add_f32_e32 v183, v183, v187
	v_mov_b32_e32 v185, v184
	v_fma_f32 v182, v106, s12, -v182
	v_mul_f32_e32 v97, 0x3f0a6770, v97
	v_mov_b32_e32 v187, v107
	v_fmac_f32_e32 v107, 0x3f0a6770, v96
	v_fmac_f32_e32 v185, 0xbf7d64f0, v96
	v_add_f32_e32 v182, v182, v186
	v_fmac_f32_e32 v184, 0x3f7d64f0, v96
	v_mov_b32_e32 v186, v97
	v_fmac_f32_e32 v187, 0xbf0a6770, v96
	v_fma_f32 v97, v106, s6, -v97
	v_add_f32_e32 v96, v107, v105
	v_add_f32_e32 v105, v101, v99
	v_sub_f32_e32 v99, v99, v101
	v_add_f32_e32 v97, v97, v104
	v_add_f32_e32 v104, v100, v98
	v_sub_f32_e32 v98, v98, v100
	v_mul_f32_e32 v100, 0xbf7d64f0, v99
	v_mov_b32_e32 v101, v100
	v_fmac_f32_e32 v101, 0xbe11bafb, v104
	v_add_f32_e32 v101, v101, v103
	v_mul_f32_e32 v103, 0xbe11bafb, v105
	v_fmac_f32_e32 v186, 0x3f575c64, v106
	v_mov_b32_e32 v106, v103
	v_fma_f32 v100, v104, s12, -v100
	v_fmac_f32_e32 v103, 0xbf7d64f0, v98
	v_add_f32_e32 v100, v100, v102
	v_add_f32_e32 v102, v103, v151
	v_mul_f32_e32 v103, 0x3e903f40, v99
	v_mov_b32_e32 v107, v103
	v_fma_f32 v103, v104, s16, -v103
	v_fmac_f32_e32 v106, 0x3f7d64f0, v98
	v_fmac_f32_e32 v107, 0xbf75a155, v104
	v_mul_f32_e32 v151, 0xbf75a155, v105
	v_add_f32_e32 v103, v103, v152
	v_mul_f32_e32 v152, 0x3f68dda4, v99
	v_add_f32_e32 v106, v106, v174
	v_add_f32_e32 v107, v107, v175
	v_mov_b32_e32 v174, v151
	v_fmac_f32_e32 v151, 0x3e903f40, v98
	v_mov_b32_e32 v175, v152
	v_fma_f32 v152, v104, s7, -v152
	v_fmac_f32_e32 v174, 0xbe903f40, v98
	v_add_f32_e32 v151, v151, v176
	v_fmac_f32_e32 v175, 0x3ed4b147, v104
	v_mul_f32_e32 v176, 0x3ed4b147, v105
	v_add_f32_e32 v152, v152, v178
	v_mul_f32_e32 v178, 0xbf0a6770, v99
	v_add_f32_e32 v174, v174, v177
	v_add_f32_e32 v175, v175, v179
	v_mov_b32_e32 v177, v176
	v_fmac_f32_e32 v176, 0x3f68dda4, v98
	v_mov_b32_e32 v179, v178
	v_fma_f32 v178, v104, s6, -v178
	v_mul_f32_e32 v99, 0xbf4178ce, v99
	v_fmac_f32_e32 v177, 0xbf68dda4, v98
	v_add_f32_e32 v176, v176, v180
	v_fmac_f32_e32 v179, 0x3f575c64, v104
	v_mul_f32_e32 v180, 0x3f575c64, v105
	v_add_f32_e32 v178, v178, v182
	v_mov_b32_e32 v182, v99
	v_mul_f32_e32 v105, 0xbf27a4f4, v105
	v_fma_f32 v99, v104, s13, -v99
	v_add_f32_e32 v177, v177, v181
	v_add_f32_e32 v179, v179, v183
	v_mov_b32_e32 v181, v180
	v_mov_b32_e32 v183, v105
	v_add_f32_e32 v97, v99, v97
	v_add_f32_e32 v99, v95, v89
	v_sub_f32_e32 v89, v89, v95
	v_fmac_f32_e32 v181, 0x3f0a6770, v98
	v_fmac_f32_e32 v180, 0xbf0a6770, v98
	;; [unrolled: 1-line block ×4, first 2 shown]
	v_add_f32_e32 v98, v94, v88
	v_sub_f32_e32 v88, v88, v94
	v_mul_f32_e32 v94, 0xbf4178ce, v89
	v_mov_b32_e32 v95, v94
	v_fmac_f32_e32 v95, 0xbf27a4f4, v98
	v_add_f32_e32 v95, v95, v101
	v_mul_f32_e32 v101, 0xbf27a4f4, v99
	v_fmac_f32_e32 v182, 0xbf27a4f4, v104
	v_mov_b32_e32 v104, v101
	v_fma_f32 v94, v98, s13, -v94
	v_fmac_f32_e32 v101, 0xbf4178ce, v88
	v_add_f32_e32 v96, v105, v96
	v_fmac_f32_e32 v104, 0x3f4178ce, v88
	v_add_f32_e32 v94, v94, v100
	v_add_f32_e32 v100, v101, v102
	v_mul_f32_e32 v101, 0x3f7d64f0, v89
	v_mul_f32_e32 v105, 0xbe11bafb, v99
	v_add_f32_e32 v104, v104, v106
	v_mov_b32_e32 v102, v101
	v_mov_b32_e32 v106, v105
	v_fma_f32 v101, v98, s12, -v101
	v_fmac_f32_e32 v105, 0x3f7d64f0, v88
	v_fmac_f32_e32 v102, 0xbe11bafb, v98
	v_add_f32_e32 v101, v101, v103
	v_add_f32_e32 v103, v105, v151
	v_mul_f32_e32 v105, 0xbf0a6770, v89
	v_add_f32_e32 v102, v102, v107
	v_mov_b32_e32 v107, v105
	v_fma_f32 v105, v98, s6, -v105
	v_fmac_f32_e32 v106, 0xbf7d64f0, v88
	v_fmac_f32_e32 v107, 0x3f575c64, v98
	v_mul_f32_e32 v151, 0x3f575c64, v99
	v_add_f32_e32 v105, v105, v152
	v_mul_f32_e32 v152, 0xbe903f40, v89
	v_add_f32_e32 v106, v106, v174
	v_add_f32_e32 v107, v107, v175
	v_mov_b32_e32 v174, v151
	v_fmac_f32_e32 v151, 0xbf0a6770, v88
	v_mov_b32_e32 v175, v152
	v_fma_f32 v152, v98, s16, -v152
	v_mul_f32_e32 v89, 0x3f68dda4, v89
	v_fmac_f32_e32 v174, 0x3f0a6770, v88
	v_add_f32_e32 v151, v151, v176
	v_fmac_f32_e32 v175, 0xbf75a155, v98
	v_mul_f32_e32 v176, 0xbf75a155, v99
	v_add_f32_e32 v152, v152, v178
	v_mov_b32_e32 v178, v89
	v_mul_f32_e32 v99, 0x3ed4b147, v99
	v_fma_f32 v89, v98, s7, -v89
	v_add_f32_e32 v174, v174, v177
	v_add_f32_e32 v175, v175, v179
	v_mov_b32_e32 v177, v176
	v_mov_b32_e32 v179, v99
	v_add_f32_e32 v89, v89, v97
	v_fmac_f32_e32 v99, 0x3f68dda4, v88
	v_add_f32_e32 v97, v93, v91
	v_sub_f32_e32 v91, v91, v93
	v_fmac_f32_e32 v177, 0x3e903f40, v88
	v_fmac_f32_e32 v176, 0xbe903f40, v88
	v_fmac_f32_e32 v179, 0xbf68dda4, v88
	v_add_f32_e32 v88, v99, v96
	v_add_f32_e32 v96, v92, v90
	v_sub_f32_e32 v90, v90, v92
	v_mul_f32_e32 v92, 0xbe903f40, v91
	v_mov_b32_e32 v93, v92
	v_fmac_f32_e32 v93, 0xbf75a155, v96
	v_add_f32_e32 v198, v93, v95
	v_mul_f32_e32 v93, 0xbf75a155, v97
	v_fma_f32 v92, v96, s16, -v92
	v_mov_b32_e32 v95, v93
	v_add_f32_e32 v200, v92, v94
	v_fmac_f32_e32 v93, 0xbe903f40, v90
	v_mul_f32_e32 v92, 0x3f0a6770, v91
	v_add_f32_e32 v201, v93, v100
	v_mov_b32_e32 v93, v92
	v_fmac_f32_e32 v93, 0x3f575c64, v96
	v_add_f32_e32 v202, v93, v102
	v_mul_f32_e32 v93, 0x3f575c64, v97
	v_fma_f32 v92, v96, s6, -v92
	v_mov_b32_e32 v94, v93
	v_add_f32_e32 v204, v92, v101
	v_fmac_f32_e32 v93, 0x3f0a6770, v90
	v_mul_f32_e32 v92, 0xbf4178ce, v91
	v_add_f32_e32 v205, v93, v103
	v_mov_b32_e32 v93, v92
	v_fmac_f32_e32 v93, 0xbf27a4f4, v96
	v_fmac_f32_e32 v94, 0xbf0a6770, v90
	v_add_f32_e32 v206, v93, v107
	v_mul_f32_e32 v93, 0xbf27a4f4, v97
	v_fma_f32 v92, v96, s13, -v92
	v_add_f32_e32 v203, v94, v106
	v_mov_b32_e32 v94, v93
	v_add_f32_e32 v208, v92, v105
	v_fmac_f32_e32 v93, 0xbf4178ce, v90
	v_mul_f32_e32 v92, 0x3f68dda4, v91
	v_add_f32_e32 v186, v186, v190
	v_add_f32_e32 v209, v93, v151
	v_mov_b32_e32 v93, v92
	v_fma_f32 v92, v96, s7, -v92
	v_mul_f32_e32 v91, 0xbf7d64f0, v91
	v_add_f32_e32 v184, v184, v188
	v_add_f32_e32 v182, v182, v186
	v_fmac_f32_e32 v178, 0x3ed4b147, v98
	v_fmac_f32_e32 v93, 0x3ed4b147, v96
	v_add_f32_e32 v212, v92, v152
	v_mov_b32_e32 v92, v91
	v_add_f32_e32 v185, v185, v189
	v_add_f32_e32 v180, v180, v184
	;; [unrolled: 1-line block ×3, first 2 shown]
	v_fmac_f32_e32 v94, 0x3f4178ce, v90
	v_add_f32_e32 v210, v93, v175
	v_mul_f32_e32 v93, 0x3ed4b147, v97
	v_fmac_f32_e32 v92, 0xbe11bafb, v96
	v_add_f32_e32 v181, v181, v185
	v_add_f32_e32 v176, v176, v180
	v_fmac_f32_e32 v95, 0x3e903f40, v90
	v_add_f32_e32 v207, v94, v174
	v_mov_b32_e32 v94, v93
	v_fmac_f32_e32 v93, 0x3f68dda4, v90
	v_add_f32_e32 v214, v92, v178
	v_mul_f32_e32 v92, 0xbe11bafb, v97
	v_sub_f32_e32 v185, v87, v134
	v_add_f32_e32 v199, v95, v104
	v_add_f32_e32 v213, v93, v176
	v_mov_b32_e32 v93, v92
	v_fma_f32 v91, v96, s12, -v91
	v_fmac_f32_e32 v92, 0xbf7d64f0, v90
	v_mul_f32_e32 v95, 0xbf7d64f0, v185
	v_add_f32_e32 v187, v187, v191
	v_fmac_f32_e32 v94, 0xbf68dda4, v90
	v_fmac_f32_e32 v93, 0x3f7d64f0, v90
	v_add_f32_e32 v216, v91, v89
	v_add_f32_e32 v217, v92, v88
	;; [unrolled: 1-line block ×3, first 2 shown]
	v_sub_f32_e32 v89, v86, v133
	v_mov_b32_e32 v90, v95
	v_add_f32_e32 v183, v183, v187
	v_add_f32_e32 v188, v134, v87
	v_fmac_f32_e32 v90, 0xbe11bafb, v88
	v_mul_f32_e32 v102, 0xbf7d64f0, v89
	v_add_f32_e32 v179, v179, v183
	v_add_f32_e32 v92, v84, v90
	v_fma_f32 v90, v188, s12, -v102
	v_mul_f32_e32 v105, 0xbf4178ce, v185
	v_add_f32_e32 v215, v93, v179
	v_add_f32_e32 v93, v85, v90
	v_mov_b32_e32 v90, v105
	v_add_f32_e32 v177, v177, v181
	v_fmac_f32_e32 v90, 0xbf27a4f4, v88
	v_mul_f32_e32 v151, 0xbf4178ce, v89
	v_sub_f32_e32 v187, v81, v3
	v_add_f32_e32 v211, v94, v177
	v_add_f32_e32 v94, v84, v90
	v_fma_f32 v90, v188, s13, -v151
	v_mul_f32_e32 v103, 0x3e903f40, v187
	v_add_f32_e32 v96, v85, v90
	v_add_f32_e32 v90, v2, v80
	v_sub_f32_e32 v91, v80, v2
	v_mov_b32_e32 v97, v103
	v_add_f32_e32 v190, v3, v81
	v_fmac_f32_e32 v97, 0xbf75a155, v90
	v_mul_f32_e32 v106, 0x3e903f40, v91
	v_add_f32_e32 v97, v97, v92
	v_fma_f32 v92, v190, s16, -v106
	v_mul_f32_e32 v152, 0x3f7d64f0, v187
	v_add_f32_e32 v98, v92, v93
	v_mov_b32_e32 v92, v152
	v_fmac_f32_e32 v92, 0xbe11bafb, v90
	v_mul_f32_e32 v176, 0x3f7d64f0, v91
	v_sub_f32_e32 v189, v83, v1
	v_add_f32_e32 v94, v92, v94
	v_fma_f32 v92, v190, s12, -v176
	v_mul_f32_e32 v107, 0x3f68dda4, v189
	v_add_f32_e32 v96, v92, v96
	v_add_f32_e32 v92, v0, v82
	v_sub_f32_e32 v93, v82, v0
	v_mov_b32_e32 v99, v107
	v_add_f32_e32 v192, v1, v83
	v_fmac_f32_e32 v99, 0x3ed4b147, v92
	v_mul_f32_e32 v174, 0x3f68dda4, v93
	v_add_f32_e32 v97, v99, v97
	v_fma_f32 v99, v192, s7, -v174
	v_mul_f32_e32 v177, 0xbf0a6770, v189
	v_add_f32_e32 v98, v99, v98
	v_mov_b32_e32 v99, v177
	v_fmac_f32_e32 v99, 0x3f575c64, v92
	v_mul_f32_e32 v180, 0xbf0a6770, v93
	v_sub_f32_e32 v191, v5, v11
	;; [unrolled: 18-line block ×3, first 2 shown]
	v_add_f32_e32 v99, v101, v99
	v_fma_f32 v101, v194, s16, -v183
	v_mul_f32_e32 v179, 0xbf4178ce, v193
	v_add_f32_e32 v218, v101, v96
	v_add_f32_e32 v101, v8, v6
	v_sub_f32_e32 v104, v6, v8
	v_mov_b32_e32 v96, v179
	v_add_f32_e32 v195, v9, v7
	v_fmac_f32_e32 v96, 0xbf27a4f4, v101
	v_mul_f32_e32 v182, 0xbf4178ce, v104
	v_add_f32_e32 v96, v96, v97
	v_fma_f32 v97, v195, s13, -v182
	v_mul_f32_e32 v184, 0x3f68dda4, v193
	v_add_f32_e32 v97, v97, v98
	v_mov_b32_e32 v98, v184
	v_fmac_f32_e32 v98, 0x3ed4b147, v101
	v_mul_f32_e32 v186, 0x3f68dda4, v104
	v_add_f32_e32 v98, v98, v99
	v_fma_f32 v99, v195, s7, -v186
	v_add_f32_e32 v99, v99, v218
	s_barrier
	ds_write2_b64 v165, v[196:197], v[198:199] offset1:1
	ds_write2_b64 v165, v[202:203], v[206:207] offset0:2 offset1:3
	ds_write2_b64 v165, v[210:211], v[214:215] offset0:4 offset1:5
	;; [unrolled: 1-line block ×4, first 2 shown]
	ds_write_b64 v165, v[200:201] offset:80
	s_and_saveexec_b64 s[4:5], s[0:1]
	s_cbranch_execz .LBB0_17
; %bb.16:
	v_add_f32_e32 v87, v87, v85
	v_add_f32_e32 v81, v81, v87
	;; [unrolled: 1-line block ×4, first 2 shown]
	v_mul_f32_e32 v219, 0xbf75a155, v188
	v_add_f32_e32 v5, v7, v5
	v_mov_b32_e32 v196, v219
	v_mul_f32_e32 v220, 0x3f575c64, v190
	v_add_f32_e32 v5, v9, v5
	v_fmac_f32_e32 v196, 0x3e903f40, v89
	v_mov_b32_e32 v197, v220
	v_add_f32_e32 v5, v11, v5
	v_add_f32_e32 v196, v85, v196
	v_fmac_f32_e32 v197, 0xbf0a6770, v91
	v_mul_f32_e32 v221, 0xbf27a4f4, v192
	v_add_f32_e32 v1, v1, v5
	v_add_f32_e32 v196, v197, v196
	v_mov_b32_e32 v197, v221
	v_add_f32_e32 v1, v3, v1
	v_add_f32_e32 v3, v86, v84
	v_fmac_f32_e32 v197, 0x3f4178ce, v93
	v_mul_f32_e32 v222, 0x3ed4b147, v194
	v_add_f32_e32 v3, v80, v3
	v_add_f32_e32 v196, v197, v196
	v_mov_b32_e32 v197, v222
	v_add_f32_e32 v3, v82, v3
	v_fmac_f32_e32 v197, 0xbf68dda4, v100
	v_mul_f32_e32 v223, 0xbe11bafb, v195
	v_add_f32_e32 v3, v4, v3
	v_add_f32_e32 v196, v197, v196
	v_mov_b32_e32 v197, v223
	;; [unrolled: 6-line block ×3, first 2 shown]
	v_mul_f32_e32 v225, 0x3f0a6770, v187
	v_add_f32_e32 v3, v10, v3
	v_fmac_f32_e32 v196, 0xbf75a155, v88
	v_mov_b32_e32 v198, v225
	v_add_f32_e32 v0, v0, v3
	v_fmac_f32_e32 v219, 0xbe903f40, v89
	v_add_f32_e32 v196, v84, v196
	v_fmac_f32_e32 v198, 0x3f575c64, v90
	v_mul_f32_e32 v226, 0xbf4178ce, v189
	v_add_f32_e32 v0, v2, v0
	v_add_f32_e32 v2, v85, v219
	v_fmac_f32_e32 v220, 0x3f0a6770, v91
	v_add_f32_e32 v196, v198, v196
	v_mov_b32_e32 v198, v226
	v_add_f32_e32 v2, v220, v2
	v_fmac_f32_e32 v221, 0xbf4178ce, v93
	v_fmac_f32_e32 v198, 0xbf27a4f4, v92
	v_mul_f32_e32 v227, 0x3f68dda4, v191
	v_add_f32_e32 v2, v221, v2
	v_fmac_f32_e32 v222, 0x3f68dda4, v100
	v_add_f32_e32 v196, v198, v196
	v_mov_b32_e32 v198, v227
	v_add_f32_e32 v2, v222, v2
	v_fmac_f32_e32 v223, 0xbf7d64f0, v104
	v_fmac_f32_e32 v198, 0x3ed4b147, v94
	v_mul_f32_e32 v228, 0xbf7d64f0, v193
	v_add_f32_e32 v3, v223, v2
	v_fma_f32 v2, v88, s16, -v224
	v_add_f32_e32 v196, v198, v196
	v_mov_b32_e32 v198, v228
	v_add_f32_e32 v2, v84, v2
	v_fma_f32 v4, v90, s6, -v225
	v_fmac_f32_e32 v198, 0xbe11bafb, v101
	v_mul_f32_e32 v229, 0x3ed4b147, v188
	v_add_f32_e32 v2, v4, v2
	v_fma_f32 v4, v92, s13, -v226
	v_add_f32_e32 v196, v198, v196
	v_mov_b32_e32 v198, v229
	v_mul_f32_e32 v230, 0xbf27a4f4, v190
	v_add_f32_e32 v2, v4, v2
	v_fma_f32 v4, v94, s7, -v227
	v_mul_f32_e32 v202, 0xbf27a4f4, v188
	v_fmac_f32_e32 v198, 0x3f68dda4, v89
	v_mov_b32_e32 v199, v230
	v_add_f32_e32 v2, v4, v2
	v_fma_f32 v4, v101, s12, -v228
	v_mul_f32_e32 v206, 0xbe11bafb, v190
	v_add_f32_e32 v198, v85, v198
	v_fmac_f32_e32 v199, 0x3f4178ce, v91
	v_mul_f32_e32 v231, 0xbf75a155, v192
	v_add_f32_e32 v2, v4, v2
	v_add_f32_e32 v4, v151, v202
	v_mul_f32_e32 v210, 0x3f575c64, v192
	v_add_f32_e32 v198, v199, v198
	v_mov_b32_e32 v199, v231
	v_add_f32_e32 v4, v85, v4
	v_add_f32_e32 v5, v176, v206
	v_mul_f32_e32 v214, 0xbf75a155, v194
	v_fmac_f32_e32 v199, 0xbe903f40, v93
	v_mul_f32_e32 v232, 0xbe11bafb, v194
	v_add_f32_e32 v4, v5, v4
	v_add_f32_e32 v5, v180, v210
	v_mul_f32_e32 v218, 0x3ed4b147, v195
	v_add_f32_e32 v198, v199, v198
	v_mov_b32_e32 v199, v232
	v_add_f32_e32 v4, v5, v4
	v_add_f32_e32 v5, v183, v214
	v_mul_f32_e32 v201, 0xbf27a4f4, v88
	v_fmac_f32_e32 v199, 0xbf7d64f0, v100
	v_mul_f32_e32 v233, 0x3f575c64, v195
	v_add_f32_e32 v4, v5, v4
	v_add_f32_e32 v5, v186, v218
	v_mul_f32_e32 v205, 0xbe11bafb, v90
	v_add_f32_e32 v198, v199, v198
	v_mov_b32_e32 v199, v233
	v_add_f32_e32 v5, v5, v4
	v_sub_f32_e32 v4, v201, v105
	v_mul_f32_e32 v209, 0x3f575c64, v92
	v_fmac_f32_e32 v199, 0xbf0a6770, v104
	v_mul_f32_e32 v234, 0xbf68dda4, v185
	v_add_f32_e32 v4, v84, v4
	v_sub_f32_e32 v6, v205, v152
	v_mul_f32_e32 v213, 0xbf75a155, v94
	v_add_f32_e32 v199, v199, v198
	v_mov_b32_e32 v198, v234
	v_mul_f32_e32 v235, 0xbf4178ce, v187
	v_add_f32_e32 v4, v6, v4
	v_sub_f32_e32 v6, v209, v177
	v_mul_f32_e32 v217, 0x3ed4b147, v101
	v_fmac_f32_e32 v198, 0x3ed4b147, v88
	v_mov_b32_e32 v236, v235
	v_add_f32_e32 v4, v6, v4
	v_sub_f32_e32 v6, v213, v181
	v_mul_f32_e32 v200, 0xbe11bafb, v188
	v_add_f32_e32 v198, v84, v198
	v_fmac_f32_e32 v236, 0xbf27a4f4, v90
	v_add_f32_e32 v4, v6, v4
	v_sub_f32_e32 v6, v217, v184
	v_mul_f32_e32 v204, 0xbf75a155, v190
	v_add_f32_e32 v198, v236, v198
	v_mul_f32_e32 v236, 0x3e903f40, v189
	v_add_f32_e32 v4, v6, v4
	v_add_f32_e32 v6, v102, v200
	v_mul_f32_e32 v208, 0x3ed4b147, v192
	v_mov_b32_e32 v237, v236
	v_add_f32_e32 v6, v85, v6
	v_add_f32_e32 v7, v106, v204
	v_mul_f32_e32 v212, 0x3f575c64, v194
	v_fmac_f32_e32 v237, 0xbf75a155, v92
	v_add_f32_e32 v6, v7, v6
	v_add_f32_e32 v7, v174, v208
	v_mul_f32_e32 v216, 0xbf27a4f4, v195
	v_add_f32_e32 v198, v237, v198
	v_mul_f32_e32 v237, 0x3f7d64f0, v191
	v_add_f32_e32 v6, v7, v6
	v_add_f32_e32 v7, v178, v212
	v_mul_f32_e32 v165, 0xbe11bafb, v88
	v_mov_b32_e32 v238, v237
	v_add_f32_e32 v6, v7, v6
	v_add_f32_e32 v7, v182, v216
	v_mul_f32_e32 v203, 0xbf75a155, v90
	v_fmac_f32_e32 v238, 0xbe11bafb, v94
	v_add_f32_e32 v7, v7, v6
	v_sub_f32_e32 v6, v165, v95
	v_mul_f32_e32 v207, 0x3ed4b147, v92
	v_add_f32_e32 v198, v238, v198
	v_mul_f32_e32 v238, 0x3f0a6770, v193
	v_add_f32_e32 v6, v84, v6
	v_sub_f32_e32 v8, v203, v103
	v_mul_f32_e32 v211, 0x3f575c64, v94
	v_mov_b32_e32 v239, v238
	v_add_f32_e32 v6, v8, v6
	v_sub_f32_e32 v8, v207, v107
	v_mul_f32_e32 v215, 0xbf27a4f4, v101
	v_fmac_f32_e32 v239, 0x3f575c64, v101
	v_add_f32_e32 v6, v8, v6
	v_sub_f32_e32 v8, v211, v175
	v_add_f32_e32 v198, v239, v198
	v_mul_f32_e32 v239, 0x3f575c64, v188
	v_add_f32_e32 v6, v8, v6
	v_sub_f32_e32 v8, v215, v179
	v_fmac_f32_e32 v229, 0xbf68dda4, v89
	v_mov_b32_e32 v188, v239
	v_mul_f32_e32 v190, 0x3ed4b147, v190
	v_add_f32_e32 v6, v8, v6
	v_add_f32_e32 v8, v85, v229
	v_fmac_f32_e32 v230, 0xbf4178ce, v91
	v_fmac_f32_e32 v188, 0x3f0a6770, v89
	v_mov_b32_e32 v240, v190
	v_add_f32_e32 v8, v230, v8
	v_fmac_f32_e32 v231, 0x3e903f40, v93
	v_add_f32_e32 v188, v85, v188
	v_fmac_f32_e32 v240, 0x3f68dda4, v91
	v_mul_f32_e32 v192, 0xbe11bafb, v192
	v_add_f32_e32 v8, v231, v8
	v_fmac_f32_e32 v232, 0x3f7d64f0, v100
	v_add_f32_e32 v188, v240, v188
	v_mov_b32_e32 v240, v192
	v_add_f32_e32 v8, v232, v8
	v_fmac_f32_e32 v233, 0x3f0a6770, v104
	v_fmac_f32_e32 v240, 0x3f7d64f0, v93
	v_mul_f32_e32 v194, 0xbf27a4f4, v194
	v_add_f32_e32 v9, v233, v8
	v_fma_f32 v8, v88, s7, -v234
	v_add_f32_e32 v188, v240, v188
	v_mov_b32_e32 v240, v194
	v_add_f32_e32 v8, v84, v8
	v_fma_f32 v10, v90, s13, -v235
	v_fmac_f32_e32 v240, 0x3f4178ce, v100
	v_mul_f32_e32 v195, 0xbf75a155, v195
	v_add_f32_e32 v8, v10, v8
	v_fma_f32 v10, v92, s16, -v236
	v_add_f32_e32 v188, v240, v188
	v_mov_b32_e32 v240, v195
	v_add_f32_e32 v8, v10, v8
	v_fma_f32 v10, v94, s12, -v237
	v_fmac_f32_e32 v240, 0x3e903f40, v104
	v_mul_f32_e32 v185, 0xbf0a6770, v185
	v_add_f32_e32 v8, v10, v8
	v_fma_f32 v10, v101, s6, -v238
	v_fmac_f32_e32 v239, 0xbf0a6770, v89
	v_add_f32_e32 v188, v240, v188
	v_mov_b32_e32 v240, v185
	v_mul_f32_e32 v241, 0xbf68dda4, v187
	v_add_f32_e32 v8, v10, v8
	v_add_f32_e32 v10, v85, v239
	v_fmac_f32_e32 v190, 0xbf68dda4, v91
	v_fmac_f32_e32 v240, 0x3f575c64, v88
	v_mov_b32_e32 v187, v241
	v_add_f32_e32 v10, v190, v10
	v_fmac_f32_e32 v192, 0xbf7d64f0, v93
	v_add_f32_e32 v240, v84, v240
	v_fmac_f32_e32 v187, 0x3ed4b147, v90
	v_mul_f32_e32 v189, 0xbf7d64f0, v189
	v_add_f32_e32 v10, v192, v10
	v_fmac_f32_e32 v194, 0xbf4178ce, v100
	v_add_f32_e32 v187, v187, v240
	v_mov_b32_e32 v240, v189
	v_add_f32_e32 v10, v194, v10
	v_fmac_f32_e32 v195, 0xbe903f40, v104
	v_fmac_f32_e32 v240, 0xbe11bafb, v92
	v_mul_f32_e32 v191, 0xbf4178ce, v191
	v_add_f32_e32 v11, v195, v10
	v_fma_f32 v10, v88, s6, -v185
	v_add_f32_e32 v187, v240, v187
	v_mov_b32_e32 v240, v191
	v_add_f32_e32 v10, v84, v10
	v_fma_f32 v80, v90, s7, -v241
	v_fmac_f32_e32 v240, 0xbf27a4f4, v94
	v_mul_f32_e32 v193, 0xbe903f40, v193
	v_add_f32_e32 v10, v80, v10
	v_fma_f32 v80, v92, s12, -v189
	v_add_f32_e32 v187, v240, v187
	v_mov_b32_e32 v240, v193
	v_add_f32_e32 v10, v80, v10
	v_fma_f32 v80, v94, s13, -v191
	v_fmac_f32_e32 v240, 0xbf75a155, v101
	v_add_f32_e32 v10, v80, v10
	v_fma_f32 v80, v101, s16, -v193
	v_add_f32_e32 v187, v240, v187
	v_add_f32_e32 v1, v134, v1
	;; [unrolled: 1-line block ×4, first 2 shown]
	v_lshlrev_b32_e32 v80, 3, v155
	ds_write2_b64 v80, v[0:1], v[187:188] offset1:1
	ds_write2_b64 v80, v[198:199], v[96:97] offset0:2 offset1:3
	ds_write2_b64 v80, v[98:99], v[196:197] offset0:4 offset1:5
	;; [unrolled: 1-line block ×4, first 2 shown]
	ds_write_b64 v80, v[10:11] offset:80
.LBB0_17:
	s_or_b64 exec, exec, s[4:5]
	v_add_u32_e32 v8, 0x1c00, v153
	v_add_u32_e32 v80, 0x2000, v153
	s_waitcnt lgkmcnt(0)
	s_barrier
	v_add_u32_e32 v0, 0x1400, v153
	ds_read2_b64 v[92:95], v8 offset0:39 offset1:149
	v_add_u32_e32 v8, 0x400, v153
	ds_read2_b64 v[88:91], v80 offset0:131 offset1:241
	v_add_u32_e32 v80, 0xc00, v153
	v_add_u32_e32 v84, 0x2800, v153
	ds_read2_b64 v[4:7], v153 offset1:110
	ds_read2_b64 v[0:3], v0 offset0:20 offset1:185
	ds_read2_b64 v[8:11], v8 offset0:92 offset1:202
	;; [unrolled: 1-line block ×4, first 2 shown]
	s_and_saveexec_b64 s[4:5], s[2:3]
	s_cbranch_execz .LBB0_19
; %bb.18:
	ds_read_b64 v[96:97], v153 offset:6160
	ds_read_b64 v[98:99], v153 offset:12760
.LBB0_19:
	s_or_b64 exec, exec, s[4:5]
	s_waitcnt lgkmcnt(3)
	v_mul_f32_e32 v100, v144, v3
	v_fmac_f32_e32 v100, v143, v2
	v_mul_f32_e32 v2, v144, v2
	v_fma_f32 v3, v143, v3, -v2
	v_mul_f32_e32 v101, v142, v93
	v_mul_f32_e32 v2, v142, v92
	v_fmac_f32_e32 v101, v141, v92
	v_fma_f32 v92, v141, v93, -v2
	v_mul_f32_e32 v93, v140, v95
	v_mul_f32_e32 v2, v140, v94
	v_fmac_f32_e32 v93, v139, v94
	v_fma_f32 v94, v139, v95, -v2
	v_mul_f32_e32 v2, v138, v88
	v_mul_f32_e32 v95, v138, v89
	v_fma_f32 v89, v137, v89, -v2
	v_mul_f32_e32 v2, v148, v90
	v_mul_f32_e32 v102, v148, v91
	v_fma_f32 v91, v147, v91, -v2
	s_waitcnt lgkmcnt(0)
	v_mul_f32_e32 v2, v146, v84
	v_mul_f32_e32 v103, v146, v85
	v_fma_f32 v104, v145, v85, -v2
	v_mul_f32_e32 v105, v150, v87
	v_mul_f32_e32 v2, v150, v86
	v_fmac_f32_e32 v95, v137, v88
	v_fmac_f32_e32 v102, v147, v90
	;; [unrolled: 1-line block ×4, first 2 shown]
	v_fma_f32 v106, v149, v87, -v2
	v_sub_f32_e32 v2, v4, v100
	v_sub_f32_e32 v3, v5, v3
	v_fma_f32 v4, v4, 2.0, -v2
	v_fma_f32 v5, v5, 2.0, -v3
	v_sub_f32_e32 v84, v6, v101
	v_sub_f32_e32 v85, v7, v92
	;; [unrolled: 1-line block ×12, first 2 shown]
	v_fma_f32 v6, v6, 2.0, -v84
	v_fma_f32 v7, v7, 2.0, -v85
	;; [unrolled: 1-line block ×12, first 2 shown]
	s_barrier
	ds_write2_b64 v158, v[4:5], v[2:3] offset1:11
	ds_write2_b64 v159, v[6:7], v[84:85] offset1:11
	;; [unrolled: 1-line block ×7, first 2 shown]
	s_and_saveexec_b64 s[4:5], s[2:3]
	s_cbranch_execz .LBB0_21
; %bb.20:
	v_mul_f32_e32 v0, v136, v98
	v_fma_f32 v0, v135, v99, -v0
	v_sub_f32_e32 v1, v97, v0
	v_mul_f32_e32 v0, v136, v99
	v_fmac_f32_e32 v0, v135, v98
	v_sub_f32_e32 v0, v96, v0
	v_mad_legacy_u16 v4, v156, 22, v157
	v_fma_f32 v3, v97, 2.0, -v1
	v_fma_f32 v2, v96, 2.0, -v0
	v_lshlrev_b32_e32 v4, 3, v4
	ds_write2_b64 v4, v[2:3], v[0:1] offset1:11
.LBB0_21:
	s_or_b64 exec, exec, s[4:5]
	v_add_u32_e32 v4, 0xc00, v153
	s_waitcnt lgkmcnt(0)
	s_barrier
	ds_read2_b64 v[80:83], v4 offset0:56 offset1:166
	v_add_u32_e32 v5, 0x2000, v153
	ds_read2_b64 v[84:87], v5 offset0:76 offset1:186
	v_add_u32_e32 v3, 0x1400, v153
	ds_read2_b64 v[88:91], v3 offset0:20 offset1:130
	v_add_u32_e32 v2, 0x2800, v153
	ds_read2_b64 v[96:99], v2 offset0:40 offset1:150
	s_waitcnt lgkmcnt(3)
	v_mul_f32_e32 v106, v29, v83
	v_mul_f32_e32 v29, v29, v82
	v_add_u32_e32 v6, 0x400, v153
	v_add_u32_e32 v7, 0x1800, v153
	v_fmac_f32_e32 v106, v28, v82
	v_fma_f32 v28, v28, v83, -v29
	s_waitcnt lgkmcnt(2)
	v_mul_f32_e32 v29, v31, v85
	v_mul_f32_e32 v31, v31, v84
	ds_read2_b64 v[8:11], v153 offset1:110
	ds_read2_b64 v[92:95], v6 offset0:92 offset1:202
	ds_read2_b64 v[100:103], v7 offset0:112 offset1:222
	ds_read_b64 v[104:105], v153 offset:12320
	v_fmac_f32_e32 v29, v30, v84
	v_fma_f32 v30, v30, v85, -v31
	s_waitcnt lgkmcnt(5)
	v_mul_f32_e32 v31, v25, v89
	v_mul_f32_e32 v25, v25, v88
	v_fmac_f32_e32 v31, v24, v88
	v_fma_f32 v24, v24, v89, -v25
	v_mul_f32_e32 v25, v27, v87
	v_mul_f32_e32 v27, v27, v86
	v_fmac_f32_e32 v25, v26, v86
	v_fma_f32 v26, v26, v87, -v27
	;; [unrolled: 4-line block ×3, first 2 shown]
	s_waitcnt lgkmcnt(4)
	v_mul_f32_e32 v12, v15, v96
	v_fma_f32 v84, v14, v97, -v12
	s_waitcnt lgkmcnt(1)
	v_mul_f32_e32 v12, v17, v100
	v_fma_f32 v86, v16, v101, -v12
	v_mul_f32_e32 v12, v19, v98
	v_fma_f32 v88, v18, v99, -v12
	v_mul_f32_e32 v12, v21, v102
	v_mul_f32_e32 v83, v15, v97
	v_fma_f32 v90, v20, v103, -v12
	s_waitcnt lgkmcnt(0)
	v_mul_f32_e32 v12, v23, v104
	v_add_f32_e32 v13, v106, v29
	v_fmac_f32_e32 v83, v14, v96
	v_fma_f32 v96, v22, v105, -v12
	v_add_f32_e32 v12, v8, v106
	v_fma_f32 v8, -0.5, v13, v8
	v_sub_f32_e32 v13, v28, v30
	v_mov_b32_e32 v14, v8
	v_add_f32_e32 v15, v28, v30
	v_mul_f32_e32 v85, v17, v101
	v_fmac_f32_e32 v14, 0xbf5db3d7, v13
	v_fmac_f32_e32 v8, 0x3f5db3d7, v13
	v_add_f32_e32 v13, v9, v28
	v_fma_f32 v9, -0.5, v15, v9
	v_fmac_f32_e32 v85, v16, v100
	v_sub_f32_e32 v16, v106, v29
	v_mov_b32_e32 v15, v9
	v_add_f32_e32 v17, v31, v25
	v_mul_f32_e32 v87, v19, v99
	v_fmac_f32_e32 v15, 0x3f5db3d7, v16
	v_fmac_f32_e32 v9, 0xbf5db3d7, v16
	v_add_f32_e32 v16, v10, v31
	v_fma_f32 v10, -0.5, v17, v10
	v_fmac_f32_e32 v87, v18, v98
	v_sub_f32_e32 v17, v24, v26
	v_mov_b32_e32 v18, v10
	v_add_f32_e32 v19, v24, v26
	v_mul_f32_e32 v89, v21, v103
	v_mul_f32_e32 v91, v23, v105
	v_fmac_f32_e32 v18, 0xbf5db3d7, v17
	v_fmac_f32_e32 v10, 0x3f5db3d7, v17
	v_add_f32_e32 v17, v11, v24
	v_fmac_f32_e32 v11, -0.5, v19
	v_add_f32_e32 v23, v82, v84
	v_fmac_f32_e32 v89, v20, v102
	v_sub_f32_e32 v20, v31, v25
	v_mov_b32_e32 v19, v11
	v_fma_f32 v23, -0.5, v23, v93
	v_add_f32_e32 v16, v16, v25
	v_add_f32_e32 v17, v17, v26
	v_fmac_f32_e32 v19, 0x3f5db3d7, v20
	v_fmac_f32_e32 v11, 0xbf5db3d7, v20
	v_add_f32_e32 v20, v92, v27
	v_add_f32_e32 v21, v27, v83
	v_sub_f32_e32 v26, v27, v83
	v_mov_b32_e32 v25, v23
	v_add_f32_e32 v27, v85, v87
	v_fmac_f32_e32 v25, 0x3f5db3d7, v26
	v_fmac_f32_e32 v23, 0xbf5db3d7, v26
	v_add_f32_e32 v26, v94, v85
	v_fma_f32 v94, -0.5, v27, v94
	v_add_f32_e32 v12, v12, v29
	v_sub_f32_e32 v27, v86, v88
	v_mov_b32_e32 v28, v94
	v_add_f32_e32 v29, v86, v88
	v_fmac_f32_e32 v91, v22, v104
	v_fmac_f32_e32 v28, 0xbf5db3d7, v27
	;; [unrolled: 1-line block ×3, first 2 shown]
	v_add_f32_e32 v27, v95, v86
	v_fmac_f32_e32 v95, -0.5, v29
	v_add_f32_e32 v13, v13, v30
	v_fma_f32 v22, -0.5, v21, v92
	v_sub_f32_e32 v30, v85, v87
	v_mov_b32_e32 v29, v95
	v_add_f32_e32 v31, v89, v91
	v_sub_f32_e32 v21, v82, v84
	v_mov_b32_e32 v24, v22
	v_fmac_f32_e32 v29, 0x3f5db3d7, v30
	v_fmac_f32_e32 v95, 0xbf5db3d7, v30
	v_add_f32_e32 v30, v80, v89
	v_fma_f32 v80, -0.5, v31, v80
	v_add_f32_e32 v20, v20, v83
	v_fmac_f32_e32 v24, 0xbf5db3d7, v21
	v_fmac_f32_e32 v22, 0x3f5db3d7, v21
	v_add_f32_e32 v21, v93, v82
	v_sub_f32_e32 v31, v90, v96
	v_mov_b32_e32 v82, v80
	v_add_f32_e32 v83, v90, v96
	v_fmac_f32_e32 v82, 0xbf5db3d7, v31
	v_fmac_f32_e32 v80, 0x3f5db3d7, v31
	v_add_f32_e32 v31, v81, v90
	v_fmac_f32_e32 v81, -0.5, v83
	v_add_f32_e32 v21, v21, v84
	v_sub_f32_e32 v84, v89, v91
	v_mov_b32_e32 v83, v81
	v_add_f32_e32 v26, v26, v87
	v_add_f32_e32 v27, v27, v88
	;; [unrolled: 1-line block ×4, first 2 shown]
	v_fmac_f32_e32 v83, 0x3f5db3d7, v84
	v_fmac_f32_e32 v81, 0xbf5db3d7, v84
	s_barrier
	ds_write2_b64 v166, v[12:13], v[14:15] offset1:22
	ds_write_b64 v166, v[8:9] offset:352
	ds_write2_b64 v167, v[16:17], v[18:19] offset1:22
	ds_write_b64 v167, v[10:11] offset:352
	;; [unrolled: 2-line block ×5, first 2 shown]
	s_waitcnt lgkmcnt(0)
	s_barrier
	ds_read2_b64 v[8:11], v153 offset1:110
	ds_read2_b64 v[12:15], v6 offset0:92 offset1:202
	ds_read2_b64 v[16:19], v3 offset0:20 offset1:130
	;; [unrolled: 1-line block ×6, first 2 shown]
	ds_read_b64 v[84:85], v153 offset:12320
	s_waitcnt lgkmcnt(6)
	v_mul_f32_e32 v86, v37, v15
	v_fmac_f32_e32 v86, v36, v14
	v_mul_f32_e32 v14, v37, v14
	v_fma_f32 v36, v36, v15, -v14
	s_waitcnt lgkmcnt(5)
	v_mul_f32_e32 v37, v39, v17
	v_mul_f32_e32 v14, v39, v16
	v_fmac_f32_e32 v37, v38, v16
	v_fma_f32 v38, v38, v17, -v14
	s_waitcnt lgkmcnt(4)
	v_mul_f32_e32 v39, v33, v23
	v_mul_f32_e32 v14, v33, v22
	v_fmac_f32_e32 v39, v32, v22
	;; [unrolled: 5-line block ×3, first 2 shown]
	v_fma_f32 v24, v34, v25, -v14
	s_waitcnt lgkmcnt(2)
	v_mul_f32_e32 v14, v45, v28
	v_fma_f32 v33, v44, v29, -v14
	v_mul_f32_e32 v14, v47, v18
	v_fma_f32 v34, v46, v19, -v14
	s_waitcnt lgkmcnt(1)
	v_mul_f32_e32 v35, v41, v81
	v_mul_f32_e32 v14, v41, v80
	v_add_f32_e32 v15, v37, v39
	v_mul_f32_e32 v32, v45, v29
	v_mul_f32_e32 v29, v47, v19
	v_fmac_f32_e32 v35, v40, v80
	v_fma_f32 v40, v40, v81, -v14
	v_mul_f32_e32 v41, v43, v27
	v_mul_f32_e32 v14, v43, v26
	v_fma_f32 v16, -0.5, v15, v8
	v_fmac_f32_e32 v29, v46, v18
	v_fmac_f32_e32 v41, v42, v26
	v_fma_f32 v42, v42, v27, -v14
	v_mul_f32_e32 v14, v53, v30
	v_mul_f32_e32 v45, v55, v21
	v_sub_f32_e32 v15, v36, v24
	v_mov_b32_e32 v18, v16
	v_fmac_f32_e32 v32, v44, v28
	v_fma_f32 v44, v52, v31, -v14
	v_fmac_f32_e32 v45, v54, v20
	v_mul_f32_e32 v14, v55, v20
	v_fmac_f32_e32 v18, 0xbf737871, v15
	v_sub_f32_e32 v17, v38, v22
	v_sub_f32_e32 v19, v86, v37
	;; [unrolled: 1-line block ×3, first 2 shown]
	v_fmac_f32_e32 v16, 0x3f737871, v15
	v_fma_f32 v46, v54, v21, -v14
	v_mul_f32_e32 v47, v49, v83
	v_mul_f32_e32 v14, v49, v82
	v_fmac_f32_e32 v18, 0xbf167918, v17
	v_add_f32_e32 v19, v19, v20
	v_fmac_f32_e32 v16, 0x3f167918, v17
	v_fmac_f32_e32 v47, v48, v82
	v_fma_f32 v48, v48, v83, -v14
	s_waitcnt lgkmcnt(0)
	v_mul_f32_e32 v49, v51, v85
	v_mul_f32_e32 v14, v51, v84
	v_fmac_f32_e32 v18, 0x3e9e377a, v19
	v_fmac_f32_e32 v16, 0x3e9e377a, v19
	v_add_f32_e32 v19, v86, v23
	v_fmac_f32_e32 v49, v50, v84
	v_fma_f32 v50, v50, v85, -v14
	v_add_f32_e32 v14, v8, v86
	v_fma_f32 v8, -0.5, v19, v8
	v_mov_b32_e32 v20, v8
	v_add_f32_e32 v14, v14, v37
	v_fmac_f32_e32 v20, 0x3f737871, v17
	v_sub_f32_e32 v19, v37, v86
	v_sub_f32_e32 v21, v39, v23
	v_fmac_f32_e32 v8, 0xbf737871, v17
	v_add_f32_e32 v17, v38, v22
	v_add_f32_e32 v14, v14, v39
	v_fmac_f32_e32 v20, 0xbf167918, v15
	v_add_f32_e32 v19, v19, v21
	v_fmac_f32_e32 v8, 0x3f167918, v15
	v_fma_f32 v17, -0.5, v17, v9
	v_add_f32_e32 v14, v14, v23
	v_fmac_f32_e32 v20, 0x3e9e377a, v19
	v_fmac_f32_e32 v8, 0x3e9e377a, v19
	v_sub_f32_e32 v23, v86, v23
	v_mov_b32_e32 v19, v17
	v_fmac_f32_e32 v19, 0x3f737871, v23
	v_sub_f32_e32 v25, v37, v39
	v_sub_f32_e32 v21, v36, v38
	;; [unrolled: 1-line block ×3, first 2 shown]
	v_fmac_f32_e32 v17, 0xbf737871, v23
	v_fmac_f32_e32 v19, 0x3f167918, v25
	v_add_f32_e32 v21, v21, v26
	v_fmac_f32_e32 v17, 0xbf167918, v25
	v_fmac_f32_e32 v19, 0x3e9e377a, v21
	;; [unrolled: 1-line block ×3, first 2 shown]
	v_add_f32_e32 v21, v36, v24
	v_add_f32_e32 v15, v9, v36
	v_fma_f32 v9, -0.5, v21, v9
	v_mov_b32_e32 v21, v9
	v_add_f32_e32 v15, v15, v38
	v_fmac_f32_e32 v21, 0xbf737871, v25
	v_fmac_f32_e32 v9, 0x3f737871, v25
	v_add_f32_e32 v15, v15, v22
	v_fmac_f32_e32 v21, 0x3f167918, v23
	v_fmac_f32_e32 v9, 0xbf167918, v23
	v_add_f32_e32 v23, v29, v35
	v_add_f32_e32 v15, v15, v24
	v_sub_f32_e32 v26, v38, v36
	v_sub_f32_e32 v22, v22, v24
	v_fma_f32 v24, -0.5, v23, v10
	v_add_f32_e32 v22, v26, v22
	v_sub_f32_e32 v23, v33, v42
	v_mov_b32_e32 v26, v24
	v_fmac_f32_e32 v26, 0xbf737871, v23
	v_sub_f32_e32 v25, v34, v40
	v_sub_f32_e32 v27, v32, v29
	;; [unrolled: 1-line block ×3, first 2 shown]
	v_fmac_f32_e32 v24, 0x3f737871, v23
	v_fmac_f32_e32 v26, 0xbf167918, v25
	v_add_f32_e32 v27, v27, v28
	v_fmac_f32_e32 v24, 0x3f167918, v25
	v_fmac_f32_e32 v26, 0x3e9e377a, v27
	;; [unrolled: 1-line block ×3, first 2 shown]
	v_add_f32_e32 v27, v32, v41
	v_fmac_f32_e32 v21, 0x3e9e377a, v22
	v_fmac_f32_e32 v9, 0x3e9e377a, v22
	v_add_f32_e32 v22, v10, v32
	v_fma_f32 v10, -0.5, v27, v10
	v_mul_f32_e32 v43, v53, v31
	v_mov_b32_e32 v28, v10
	v_fmac_f32_e32 v43, v52, v30
	v_fmac_f32_e32 v28, 0x3f737871, v25
	v_sub_f32_e32 v27, v29, v32
	v_sub_f32_e32 v30, v35, v41
	v_fmac_f32_e32 v10, 0xbf737871, v25
	v_add_f32_e32 v25, v34, v40
	v_fmac_f32_e32 v28, 0xbf167918, v23
	v_add_f32_e32 v27, v27, v30
	v_fmac_f32_e32 v10, 0x3f167918, v23
	v_fma_f32 v25, -0.5, v25, v11
	v_fmac_f32_e32 v28, 0x3e9e377a, v27
	v_fmac_f32_e32 v10, 0x3e9e377a, v27
	v_sub_f32_e32 v30, v32, v41
	v_mov_b32_e32 v27, v25
	v_add_f32_e32 v22, v22, v29
	v_fmac_f32_e32 v27, 0x3f737871, v30
	v_sub_f32_e32 v31, v29, v35
	v_sub_f32_e32 v29, v33, v34
	;; [unrolled: 1-line block ×3, first 2 shown]
	v_fmac_f32_e32 v25, 0xbf737871, v30
	v_fmac_f32_e32 v27, 0x3f167918, v31
	v_add_f32_e32 v29, v29, v32
	v_fmac_f32_e32 v25, 0xbf167918, v31
	v_fmac_f32_e32 v27, 0x3e9e377a, v29
	;; [unrolled: 1-line block ×3, first 2 shown]
	v_add_f32_e32 v29, v33, v42
	v_add_f32_e32 v23, v11, v33
	v_fmac_f32_e32 v11, -0.5, v29
	v_mov_b32_e32 v29, v11
	v_fmac_f32_e32 v29, 0xbf737871, v31
	v_sub_f32_e32 v32, v34, v33
	v_sub_f32_e32 v33, v40, v42
	v_fmac_f32_e32 v11, 0x3f737871, v31
	v_fmac_f32_e32 v29, 0x3f167918, v30
	v_add_f32_e32 v32, v32, v33
	v_fmac_f32_e32 v11, 0xbf167918, v30
	v_add_f32_e32 v31, v45, v47
	v_fmac_f32_e32 v29, 0x3e9e377a, v32
	v_fmac_f32_e32 v11, 0x3e9e377a, v32
	v_fma_f32 v32, -0.5, v31, v12
	v_add_f32_e32 v23, v23, v34
	v_sub_f32_e32 v31, v44, v50
	v_mov_b32_e32 v34, v32
	v_add_f32_e32 v22, v22, v35
	v_fmac_f32_e32 v34, 0xbf737871, v31
	v_sub_f32_e32 v33, v46, v48
	v_sub_f32_e32 v35, v43, v45
	;; [unrolled: 1-line block ×3, first 2 shown]
	v_fmac_f32_e32 v32, 0x3f737871, v31
	v_fmac_f32_e32 v34, 0xbf167918, v33
	v_add_f32_e32 v35, v35, v36
	v_fmac_f32_e32 v32, 0x3f167918, v33
	v_fmac_f32_e32 v34, 0x3e9e377a, v35
	;; [unrolled: 1-line block ×3, first 2 shown]
	v_add_f32_e32 v35, v43, v49
	v_add_f32_e32 v30, v12, v43
	v_fma_f32 v12, -0.5, v35, v12
	v_mov_b32_e32 v36, v12
	v_fmac_f32_e32 v36, 0x3f737871, v33
	v_sub_f32_e32 v35, v45, v43
	v_sub_f32_e32 v37, v47, v49
	v_fmac_f32_e32 v12, 0xbf737871, v33
	v_add_f32_e32 v33, v46, v48
	v_fmac_f32_e32 v36, 0xbf167918, v31
	v_add_f32_e32 v35, v35, v37
	v_fmac_f32_e32 v12, 0x3f167918, v31
	v_fma_f32 v33, -0.5, v33, v13
	v_fmac_f32_e32 v36, 0x3e9e377a, v35
	v_fmac_f32_e32 v12, 0x3e9e377a, v35
	v_sub_f32_e32 v38, v43, v49
	v_mov_b32_e32 v35, v33
	v_add_f32_e32 v23, v23, v40
	v_fmac_f32_e32 v35, 0x3f737871, v38
	v_sub_f32_e32 v39, v45, v47
	v_sub_f32_e32 v37, v44, v46
	v_sub_f32_e32 v40, v50, v48
	v_fmac_f32_e32 v33, 0xbf737871, v38
	v_fmac_f32_e32 v35, 0x3f167918, v39
	v_add_f32_e32 v37, v37, v40
	v_fmac_f32_e32 v33, 0xbf167918, v39
	v_fmac_f32_e32 v35, 0x3e9e377a, v37
	;; [unrolled: 1-line block ×3, first 2 shown]
	v_add_f32_e32 v37, v44, v50
	v_add_f32_e32 v31, v13, v44
	v_fmac_f32_e32 v13, -0.5, v37
	v_mov_b32_e32 v37, v13
	v_add_f32_e32 v22, v22, v41
	v_add_f32_e32 v30, v30, v45
	;; [unrolled: 1-line block ×3, first 2 shown]
	v_fmac_f32_e32 v37, 0xbf737871, v39
	v_sub_f32_e32 v40, v46, v44
	v_sub_f32_e32 v41, v48, v50
	v_fmac_f32_e32 v13, 0x3f737871, v39
	v_add_f32_e32 v30, v30, v47
	v_add_f32_e32 v31, v31, v48
	v_fmac_f32_e32 v37, 0x3f167918, v38
	v_add_f32_e32 v40, v40, v41
	v_fmac_f32_e32 v13, 0xbf167918, v38
	v_add_f32_e32 v23, v23, v42
	v_add_f32_e32 v30, v30, v49
	;; [unrolled: 1-line block ×3, first 2 shown]
	v_fmac_f32_e32 v37, 0x3e9e377a, v40
	v_fmac_f32_e32 v13, 0x3e9e377a, v40
	s_barrier
	ds_write2_b64 v171, v[14:15], v[18:19] offset1:66
	ds_write2_b64 v171, v[20:21], v[8:9] offset0:132 offset1:198
	ds_write_b64 v171, v[16:17] offset:2112
	ds_write2_b64 v172, v[22:23], v[26:27] offset1:66
	ds_write2_b64 v172, v[28:29], v[10:11] offset0:132 offset1:198
	ds_write_b64 v172, v[24:25] offset:2112
	;; [unrolled: 3-line block ×3, first 2 shown]
	s_waitcnt lgkmcnt(0)
	s_barrier
	ds_read2_b64 v[8:11], v153 offset1:110
	ds_read2_b64 v[12:15], v6 offset0:92 offset1:202
	ds_read2_b64 v[16:19], v3 offset0:20 offset1:130
	;; [unrolled: 1-line block ×6, first 2 shown]
	ds_read_b64 v[36:37], v153 offset:12320
	s_waitcnt lgkmcnt(6)
	v_mul_f32_e32 v38, v65, v15
	v_fmac_f32_e32 v38, v64, v14
	v_mul_f32_e32 v14, v65, v14
	v_fma_f32 v39, v64, v15, -v14
	s_waitcnt lgkmcnt(5)
	v_mul_f32_e32 v14, v67, v16
	v_fma_f32 v41, v66, v17, -v14
	s_waitcnt lgkmcnt(4)
	v_mul_f32_e32 v42, v57, v23
	v_mul_f32_e32 v14, v57, v22
	v_fmac_f32_e32 v42, v56, v22
	v_fma_f32 v22, v56, v23, -v14
	s_waitcnt lgkmcnt(3)
	v_mul_f32_e32 v23, v59, v25
	v_mul_f32_e32 v14, v59, v24
	;; [unrolled: 1-line block ×3, first 2 shown]
	v_fmac_f32_e32 v23, v58, v24
	v_fma_f32 v24, v58, v25, -v14
	s_waitcnt lgkmcnt(2)
	v_mul_f32_e32 v14, v73, v28
	v_fmac_f32_e32 v40, v66, v16
	v_fma_f32 v44, v72, v29, -v14
	v_mul_f32_e32 v14, v75, v18
	v_fma_f32 v45, v74, v19, -v14
	s_waitcnt lgkmcnt(1)
	v_mul_f32_e32 v46, v61, v33
	v_mul_f32_e32 v14, v61, v32
	v_add_f32_e32 v15, v40, v42
	v_mul_f32_e32 v43, v73, v29
	v_mul_f32_e32 v29, v75, v19
	v_fmac_f32_e32 v46, v60, v32
	v_fma_f32 v32, v60, v33, -v14
	v_mul_f32_e32 v14, v63, v26
	v_fma_f32 v16, -0.5, v15, v8
	v_fmac_f32_e32 v29, v74, v18
	v_fma_f32 v47, v62, v27, -v14
	v_mul_f32_e32 v14, v77, v30
	v_mul_f32_e32 v50, v79, v21
	v_sub_f32_e32 v15, v39, v24
	v_mov_b32_e32 v18, v16
	v_fma_f32 v49, v76, v31, -v14
	v_fmac_f32_e32 v50, v78, v20
	v_mul_f32_e32 v14, v79, v20
	v_fmac_f32_e32 v18, 0xbf737871, v15
	v_sub_f32_e32 v17, v41, v22
	v_sub_f32_e32 v19, v38, v40
	;; [unrolled: 1-line block ×3, first 2 shown]
	v_fmac_f32_e32 v16, 0x3f737871, v15
	v_fma_f32 v51, v78, v21, -v14
	v_mul_f32_e32 v14, v69, v34
	v_fmac_f32_e32 v18, 0xbf167918, v17
	v_add_f32_e32 v19, v19, v20
	v_fmac_f32_e32 v16, 0x3f167918, v17
	v_fma_f32 v53, v68, v35, -v14
	s_waitcnt lgkmcnt(0)
	v_mul_f32_e32 v14, v71, v36
	v_fmac_f32_e32 v18, 0x3e9e377a, v19
	v_fmac_f32_e32 v16, 0x3e9e377a, v19
	v_add_f32_e32 v19, v38, v23
	v_fma_f32 v54, v70, v37, -v14
	v_add_f32_e32 v14, v8, v38
	v_fma_f32 v8, -0.5, v19, v8
	v_mov_b32_e32 v20, v8
	v_add_f32_e32 v14, v14, v40
	v_fmac_f32_e32 v20, 0x3f737871, v17
	v_sub_f32_e32 v19, v40, v38
	v_sub_f32_e32 v21, v42, v23
	v_fmac_f32_e32 v8, 0xbf737871, v17
	v_add_f32_e32 v17, v41, v22
	v_add_f32_e32 v14, v14, v42
	v_fmac_f32_e32 v20, 0xbf167918, v15
	v_add_f32_e32 v19, v19, v21
	v_fmac_f32_e32 v8, 0x3f167918, v15
	v_fma_f32 v17, -0.5, v17, v9
	v_mul_f32_e32 v33, v63, v27
	v_add_f32_e32 v14, v14, v23
	v_fmac_f32_e32 v20, 0x3e9e377a, v19
	v_fmac_f32_e32 v8, 0x3e9e377a, v19
	v_sub_f32_e32 v23, v38, v23
	v_mov_b32_e32 v19, v17
	v_fmac_f32_e32 v33, v62, v26
	v_fmac_f32_e32 v19, 0x3f737871, v23
	v_sub_f32_e32 v25, v40, v42
	v_sub_f32_e32 v21, v39, v41
	;; [unrolled: 1-line block ×3, first 2 shown]
	v_fmac_f32_e32 v17, 0xbf737871, v23
	v_fmac_f32_e32 v19, 0x3f167918, v25
	v_add_f32_e32 v21, v21, v26
	v_fmac_f32_e32 v17, 0xbf167918, v25
	v_fmac_f32_e32 v19, 0x3e9e377a, v21
	;; [unrolled: 1-line block ×3, first 2 shown]
	v_add_f32_e32 v21, v39, v24
	v_add_f32_e32 v15, v9, v39
	v_fma_f32 v9, -0.5, v21, v9
	v_mov_b32_e32 v21, v9
	v_add_f32_e32 v15, v15, v41
	v_fmac_f32_e32 v21, 0xbf737871, v25
	v_fmac_f32_e32 v9, 0x3f737871, v25
	v_add_f32_e32 v15, v15, v22
	v_fmac_f32_e32 v21, 0x3f167918, v23
	v_fmac_f32_e32 v9, 0xbf167918, v23
	v_add_f32_e32 v23, v29, v46
	v_add_f32_e32 v15, v15, v24
	v_sub_f32_e32 v26, v41, v39
	v_sub_f32_e32 v22, v22, v24
	v_fma_f32 v24, -0.5, v23, v10
	v_fmac_f32_e32 v43, v72, v28
	v_add_f32_e32 v22, v26, v22
	v_sub_f32_e32 v23, v44, v47
	v_mov_b32_e32 v26, v24
	v_fmac_f32_e32 v26, 0xbf737871, v23
	v_sub_f32_e32 v25, v45, v32
	v_sub_f32_e32 v27, v43, v29
	;; [unrolled: 1-line block ×3, first 2 shown]
	v_fmac_f32_e32 v24, 0x3f737871, v23
	v_fmac_f32_e32 v26, 0xbf167918, v25
	v_add_f32_e32 v27, v27, v28
	v_fmac_f32_e32 v24, 0x3f167918, v25
	v_fmac_f32_e32 v26, 0x3e9e377a, v27
	;; [unrolled: 1-line block ×3, first 2 shown]
	v_add_f32_e32 v27, v43, v33
	v_fmac_f32_e32 v21, 0x3e9e377a, v22
	v_fmac_f32_e32 v9, 0x3e9e377a, v22
	v_add_f32_e32 v22, v10, v43
	v_fma_f32 v10, -0.5, v27, v10
	v_mul_f32_e32 v48, v77, v31
	v_mov_b32_e32 v28, v10
	v_fmac_f32_e32 v48, v76, v30
	v_fmac_f32_e32 v28, 0x3f737871, v25
	v_sub_f32_e32 v27, v29, v43
	v_sub_f32_e32 v30, v46, v33
	v_fmac_f32_e32 v10, 0xbf737871, v25
	v_add_f32_e32 v25, v45, v32
	v_add_f32_e32 v22, v22, v29
	v_fmac_f32_e32 v28, 0xbf167918, v23
	v_add_f32_e32 v27, v27, v30
	v_fmac_f32_e32 v10, 0x3f167918, v23
	v_fma_f32 v25, -0.5, v25, v11
	v_add_f32_e32 v22, v22, v46
	v_fmac_f32_e32 v28, 0x3e9e377a, v27
	v_fmac_f32_e32 v10, 0x3e9e377a, v27
	v_sub_f32_e32 v30, v43, v33
	v_mov_b32_e32 v27, v25
	v_add_f32_e32 v22, v22, v33
	v_fmac_f32_e32 v27, 0x3f737871, v30
	v_sub_f32_e32 v31, v29, v46
	v_sub_f32_e32 v29, v44, v45
	;; [unrolled: 1-line block ×3, first 2 shown]
	v_fmac_f32_e32 v25, 0xbf737871, v30
	v_fmac_f32_e32 v27, 0x3f167918, v31
	v_add_f32_e32 v29, v29, v33
	v_fmac_f32_e32 v25, 0xbf167918, v31
	v_fmac_f32_e32 v27, 0x3e9e377a, v29
	;; [unrolled: 1-line block ×3, first 2 shown]
	v_add_f32_e32 v29, v44, v47
	v_add_f32_e32 v23, v11, v44
	v_fmac_f32_e32 v11, -0.5, v29
	v_mul_f32_e32 v52, v69, v35
	v_add_f32_e32 v23, v23, v45
	v_mov_b32_e32 v29, v11
	v_fmac_f32_e32 v52, v68, v34
	v_add_f32_e32 v23, v23, v32
	v_fmac_f32_e32 v29, 0xbf737871, v31
	v_sub_f32_e32 v33, v45, v44
	v_sub_f32_e32 v32, v32, v47
	v_fmac_f32_e32 v11, 0x3f737871, v31
	v_fmac_f32_e32 v29, 0x3f167918, v30
	v_add_f32_e32 v32, v33, v32
	v_fmac_f32_e32 v11, 0xbf167918, v30
	v_add_f32_e32 v31, v50, v52
	v_mul_f32_e32 v35, v71, v37
	v_fmac_f32_e32 v29, 0x3e9e377a, v32
	v_fmac_f32_e32 v11, 0x3e9e377a, v32
	v_fma_f32 v32, -0.5, v31, v12
	v_fmac_f32_e32 v35, v70, v36
	v_sub_f32_e32 v31, v49, v54
	v_mov_b32_e32 v34, v32
	v_fmac_f32_e32 v34, 0xbf737871, v31
	v_sub_f32_e32 v33, v51, v53
	v_sub_f32_e32 v36, v48, v50
	;; [unrolled: 1-line block ×3, first 2 shown]
	v_fmac_f32_e32 v32, 0x3f737871, v31
	v_fmac_f32_e32 v34, 0xbf167918, v33
	v_add_f32_e32 v36, v36, v37
	v_fmac_f32_e32 v32, 0x3f167918, v33
	v_fmac_f32_e32 v34, 0x3e9e377a, v36
	;; [unrolled: 1-line block ×3, first 2 shown]
	v_add_f32_e32 v36, v48, v35
	v_add_f32_e32 v30, v12, v48
	v_fma_f32 v12, -0.5, v36, v12
	v_mov_b32_e32 v36, v12
	v_add_f32_e32 v30, v30, v50
	v_fmac_f32_e32 v36, 0x3f737871, v33
	v_fmac_f32_e32 v12, 0xbf737871, v33
	v_add_f32_e32 v33, v51, v53
	v_add_f32_e32 v30, v30, v52
	v_sub_f32_e32 v37, v50, v48
	v_sub_f32_e32 v38, v52, v35
	v_fma_f32 v33, -0.5, v33, v13
	v_add_f32_e32 v30, v30, v35
	v_fmac_f32_e32 v36, 0xbf167918, v31
	v_add_f32_e32 v37, v37, v38
	v_fmac_f32_e32 v12, 0x3f167918, v31
	v_sub_f32_e32 v38, v48, v35
	v_mov_b32_e32 v35, v33
	v_fmac_f32_e32 v36, 0x3e9e377a, v37
	v_fmac_f32_e32 v12, 0x3e9e377a, v37
	;; [unrolled: 1-line block ×3, first 2 shown]
	v_sub_f32_e32 v39, v50, v52
	v_sub_f32_e32 v37, v49, v51
	;; [unrolled: 1-line block ×3, first 2 shown]
	v_fmac_f32_e32 v33, 0xbf737871, v38
	v_fmac_f32_e32 v35, 0x3f167918, v39
	v_add_f32_e32 v37, v37, v40
	v_fmac_f32_e32 v33, 0xbf167918, v39
	v_fmac_f32_e32 v35, 0x3e9e377a, v37
	;; [unrolled: 1-line block ×3, first 2 shown]
	v_add_f32_e32 v37, v49, v54
	v_add_f32_e32 v31, v13, v49
	v_fmac_f32_e32 v13, -0.5, v37
	v_mov_b32_e32 v37, v13
	v_add_f32_e32 v31, v31, v51
	v_fmac_f32_e32 v37, 0xbf737871, v39
	v_sub_f32_e32 v40, v51, v49
	v_sub_f32_e32 v41, v53, v54
	v_fmac_f32_e32 v13, 0x3f737871, v39
	v_add_f32_e32 v23, v23, v47
	v_add_f32_e32 v31, v31, v53
	v_fmac_f32_e32 v37, 0x3f167918, v38
	v_add_f32_e32 v40, v40, v41
	v_fmac_f32_e32 v13, 0xbf167918, v38
	;; [unrolled: 2-line block ×3, first 2 shown]
	v_fmac_f32_e32 v13, 0x3e9e377a, v40
	ds_write2_b64 v153, v[14:15], v[22:23] offset1:110
	ds_write2_b64 v3, v[20:21], v[28:29] offset0:20 offset1:130
	ds_write2_b64 v2, v[16:17], v[24:25] offset0:40 offset1:150
	ds_write2_b64 v6, v[30:31], v[18:19] offset0:92 offset1:202
	ds_write2_b64 v4, v[26:27], v[34:35] offset0:56 offset1:166
	ds_write2_b64 v7, v[36:37], v[8:9] offset0:112 offset1:222
	ds_write2_b64 v5, v[10:11], v[12:13] offset0:76 offset1:186
	ds_write_b64 v153, v[32:33] offset:12320
	s_waitcnt lgkmcnt(0)
	s_barrier
	ds_read2_b64 v[5:8], v153 offset1:150
	v_mad_u64_u32 v[0:1], s[2:3], s10, v124, 0
	v_mad_u64_u32 v[12:13], s[4:5], s8, v154, 0
	;; [unrolled: 1-line block ×3, first 2 shown]
	s_waitcnt lgkmcnt(0)
	v_mul_f32_e32 v1, v132, v6
	v_fmac_f32_e32 v1, v131, v5
	v_cvt_f64_f32_e32 v[10:11], v1
	v_mul_f32_e32 v1, v132, v5
	v_fma_f32 v1, v131, v6, -v1
	v_cvt_f64_f32_e32 v[5:6], v1
	s_mov_b32 s2, 0x3dc013dc
	s_mov_b32 s3, 0x3f43dc01
	v_mul_f64 v[10:11], v[10:11], s[2:3]
	v_mul_f64 v[5:6], v[5:6], s[2:3]
	v_mov_b32_e32 v1, v9
	v_mov_b32_e32 v9, v13
	v_lshlrev_b64 v[0:1], 3, v[0:1]
	s_movk_i32 s6, 0x2000
	s_movk_i32 s7, 0x1000
	v_mad_u64_u32 v[13:14], s[4:5], s9, v154, v[9:10]
	v_cvt_f32_f64_e32 v9, v[10:11]
	v_cvt_f32_f64_e32 v10, v[5:6]
	v_mul_f32_e32 v5, v130, v8
	v_fmac_f32_e32 v5, v129, v7
	v_cvt_f64_f32_e32 v[5:6], v5
	v_mov_b32_e32 v11, s15
	v_add_co_u32_e32 v14, vcc, s14, v0
	v_addc_co_u32_e32 v15, vcc, v11, v1, vcc
	v_mul_f64 v[0:1], v[5:6], s[2:3]
	v_mul_f32_e32 v7, v130, v7
	v_fma_f32 v7, v129, v8, -v7
	v_cvt_f64_f32_e32 v[7:8], v7
	v_lshlrev_b64 v[5:6], 3, v[12:13]
	s_mul_i32 s4, s9, 0x96
	v_add_co_u32_e32 v13, vcc, v14, v5
	v_cvt_f32_f64_e32 v0, v[0:1]
	v_add_u32_e32 v1, 0x800, v153
	v_mul_f64 v[11:12], v[7:8], s[2:3]
	v_addc_co_u32_e32 v14, vcc, v15, v6, vcc
	ds_read2_b64 v[5:8], v1 offset0:44 offset1:194
	global_store_dwordx2 v[13:14], v[9:10], off
	s_mul_hi_u32 s5, s8, 0x96
	s_add_i32 s5, s5, s4
	s_mul_i32 s4, s8, 0x96
	s_waitcnt lgkmcnt(0)
	v_mul_f32_e32 v9, v128, v6
	v_fmac_f32_e32 v9, v127, v5
	v_mul_f32_e32 v5, v128, v5
	v_fma_f32 v5, v127, v6, -v5
	v_cvt_f64_f32_e32 v[5:6], v5
	v_cvt_f64_f32_e32 v[9:10], v9
	v_cvt_f32_f64_e32 v1, v[11:12]
	s_lshl_b64 s[4:5], s[4:5], 3
	v_mul_f64 v[5:6], v[5:6], s[2:3]
	v_mul_f64 v[9:10], v[9:10], s[2:3]
	v_mov_b32_e32 v17, s5
	v_add_co_u32_e32 v11, vcc, s4, v13
	v_addc_co_u32_e32 v12, vcc, v14, v17, vcc
	global_store_dwordx2 v[11:12], v[0:1], off
	v_cvt_f32_f64_e32 v1, v[5:6]
	v_mul_f32_e32 v5, v123, v8
	v_fmac_f32_e32 v5, v122, v7
	v_cvt_f32_f64_e32 v0, v[9:10]
	v_cvt_f64_f32_e32 v[9:10], v5
	v_mul_f32_e32 v5, v123, v7
	v_fma_f32 v5, v122, v8, -v5
	v_cvt_f64_f32_e32 v[13:14], v5
	v_add_u32_e32 v5, 0x1000, v153
	ds_read2_b64 v[5:8], v5 offset0:88 offset1:238
	v_add_co_u32_e32 v11, vcc, s4, v11
	v_addc_co_u32_e32 v12, vcc, v12, v17, vcc
	global_store_dwordx2 v[11:12], v[0:1], off
	v_mul_f64 v[0:1], v[9:10], s[2:3]
	v_mul_f64 v[9:10], v[13:14], s[2:3]
	s_waitcnt lgkmcnt(0)
	v_mul_f32_e32 v13, v126, v6
	v_fmac_f32_e32 v13, v125, v5
	v_mul_f32_e32 v5, v126, v5
	v_fma_f32 v5, v125, v6, -v5
	v_cvt_f64_f32_e32 v[5:6], v5
	v_cvt_f64_f32_e32 v[13:14], v13
	v_cvt_f32_f64_e32 v0, v[0:1]
	v_cvt_f32_f64_e32 v1, v[9:10]
	v_mul_f64 v[5:6], v[5:6], s[2:3]
	v_mul_f64 v[9:10], v[13:14], s[2:3]
	v_add_co_u32_e32 v11, vcc, s4, v11
	v_addc_co_u32_e32 v12, vcc, v12, v17, vcc
	global_store_dwordx2 v[11:12], v[0:1], off
	v_add_co_u32_e32 v11, vcc, s4, v11
	v_cvt_f32_f64_e32 v1, v[5:6]
	v_mul_f32_e32 v5, v121, v8
	v_fmac_f32_e32 v5, v120, v7
	v_cvt_f32_f64_e32 v0, v[9:10]
	v_cvt_f64_f32_e32 v[9:10], v5
	v_mul_f32_e32 v5, v121, v7
	v_fma_f32 v5, v120, v8, -v5
	v_cvt_f64_f32_e32 v[13:14], v5
	v_add_u32_e32 v5, 0x1c00, v153
	ds_read2_b64 v[5:8], v5 offset0:4 offset1:154
	v_mul_f64 v[9:10], v[9:10], s[2:3]
	v_mul_f64 v[13:14], v[13:14], s[2:3]
	v_addc_co_u32_e32 v12, vcc, v12, v17, vcc
	s_waitcnt lgkmcnt(0)
	v_mul_f32_e32 v15, v119, v6
	v_fmac_f32_e32 v15, v118, v5
	v_mul_f32_e32 v5, v119, v5
	v_fma_f32 v5, v118, v6, -v5
	v_cvt_f64_f32_e32 v[5:6], v5
	v_cvt_f64_f32_e32 v[15:16], v15
	global_store_dwordx2 v[11:12], v[0:1], off
	v_cvt_f32_f64_e32 v0, v[9:10]
	v_mul_f64 v[5:6], v[5:6], s[2:3]
	v_mul_f64 v[9:10], v[15:16], s[2:3]
	v_cvt_f32_f64_e32 v1, v[13:14]
	v_add_co_u32_e32 v11, vcc, s4, v11
	v_addc_co_u32_e32 v12, vcc, v12, v17, vcc
	global_store_dwordx2 v[11:12], v[0:1], off
	v_cvt_f32_f64_e32 v1, v[5:6]
	v_mul_f32_e32 v5, v117, v8
	v_fmac_f32_e32 v5, v116, v7
	v_cvt_f32_f64_e32 v0, v[9:10]
	v_cvt_f64_f32_e32 v[9:10], v5
	v_mul_f32_e32 v5, v117, v7
	v_fma_f32 v5, v116, v8, -v5
	v_cvt_f64_f32_e32 v[13:14], v5
	v_add_u32_e32 v5, 0x2400, v153
	ds_read2_b64 v[5:8], v5 offset0:48 offset1:198
	v_mul_f64 v[9:10], v[9:10], s[2:3]
	v_mul_f64 v[13:14], v[13:14], s[2:3]
	v_add_co_u32_e32 v11, vcc, s4, v11
	s_waitcnt lgkmcnt(0)
	v_mul_f32_e32 v15, v115, v6
	v_fmac_f32_e32 v15, v114, v5
	v_mul_f32_e32 v5, v115, v5
	v_fma_f32 v5, v114, v6, -v5
	v_cvt_f64_f32_e32 v[5:6], v5
	v_cvt_f64_f32_e32 v[15:16], v15
	v_addc_co_u32_e32 v12, vcc, v12, v17, vcc
	v_mul_f64 v[5:6], v[5:6], s[2:3]
	global_store_dwordx2 v[11:12], v[0:1], off
	v_cvt_f32_f64_e32 v0, v[9:10]
	v_mul_f64 v[9:10], v[15:16], s[2:3]
	v_cvt_f32_f64_e32 v1, v[13:14]
	v_add_co_u32_e32 v11, vcc, s4, v11
	v_addc_co_u32_e32 v12, vcc, v12, v17, vcc
	global_store_dwordx2 v[11:12], v[0:1], off
	v_cvt_f32_f64_e32 v1, v[5:6]
	v_mul_f32_e32 v5, v113, v8
	v_fmac_f32_e32 v5, v112, v7
	v_cvt_f32_f64_e32 v0, v[9:10]
	v_cvt_f64_f32_e32 v[5:6], v5
	ds_read_b64 v[9:10], v153 offset:12000
	v_mul_f32_e32 v7, v113, v7
	v_fma_f32 v7, v112, v8, -v7
	v_mul_f64 v[5:6], v[5:6], s[2:3]
	v_cvt_f64_f32_e32 v[7:8], v7
	s_waitcnt lgkmcnt(0)
	v_mul_f32_e32 v13, v111, v10
	v_fmac_f32_e32 v13, v110, v9
	v_mul_f32_e32 v9, v111, v9
	v_fma_f32 v9, v110, v10, -v9
	v_cvt_f64_f32_e32 v[13:14], v13
	v_cvt_f64_f32_e32 v[9:10], v9
	v_add_co_u32_e32 v11, vcc, s4, v11
	v_mul_f64 v[7:8], v[7:8], s[2:3]
	v_addc_co_u32_e32 v12, vcc, v12, v17, vcc
	global_store_dwordx2 v[11:12], v[0:1], off
	v_cvt_f32_f64_e32 v0, v[5:6]
	v_mul_f64 v[5:6], v[13:14], s[2:3]
	v_mul_f64 v[9:10], v[9:10], s[2:3]
	v_cvt_f32_f64_e32 v1, v[7:8]
	v_add_co_u32_e32 v7, vcc, s4, v11
	v_addc_co_u32_e32 v8, vcc, v12, v17, vcc
	v_cvt_f32_f64_e32 v5, v[5:6]
	v_cvt_f32_f64_e32 v6, v[9:10]
	global_store_dwordx2 v[7:8], v[0:1], off
	v_add_co_u32_e32 v0, vcc, s4, v7
	v_addc_co_u32_e32 v1, vcc, v8, v17, vcc
	global_store_dwordx2 v[0:1], v[5:6], off
	s_and_b64 exec, exec, s[0:1]
	s_cbranch_execz .LBB0_23
; %bb.22:
	global_load_dwordx2 v[9:10], v[108:109], off offset:880
	v_add_u32_e32 v5, 0x200, v153
	ds_read2_b64 v[5:8], v5 offset0:46 offset1:196
	v_mov_b32_e32 v12, s5
	s_waitcnt vmcnt(0) lgkmcnt(0)
	v_mul_f32_e32 v11, v6, v10
	v_mul_f32_e32 v10, v5, v10
	v_fmac_f32_e32 v11, v5, v9
	v_fma_f32 v9, v9, v6, -v10
	v_cvt_f64_f32_e32 v[5:6], v11
	v_cvt_f64_f32_e32 v[9:10], v9
	v_mov_b32_e32 v11, 0xffffd490
	v_mad_u64_u32 v[0:1], s[0:1], s8, v11, v[0:1]
	v_mul_f64 v[5:6], v[5:6], s[2:3]
	v_mul_f64 v[9:10], v[9:10], s[2:3]
	s_mul_i32 s0, s9, 0xffffd490
	s_sub_i32 s0, s0, s8
	v_add_u32_e32 v1, s0, v1
	s_movk_i32 s0, 0x3000
	v_cvt_f32_f64_e32 v5, v[5:6]
	v_cvt_f32_f64_e32 v6, v[9:10]
	global_store_dwordx2 v[0:1], v[5:6], off
	global_load_dwordx2 v[5:6], v[108:109], off offset:2080
	v_add_co_u32_e32 v0, vcc, s4, v0
	v_addc_co_u32_e32 v1, vcc, v1, v12, vcc
	s_waitcnt vmcnt(0)
	v_mul_f32_e32 v9, v8, v6
	v_mul_f32_e32 v6, v7, v6
	v_fmac_f32_e32 v9, v7, v5
	v_fma_f32 v7, v5, v8, -v6
	v_cvt_f64_f32_e32 v[5:6], v9
	v_cvt_f64_f32_e32 v[7:8], v7
	v_mul_f64 v[5:6], v[5:6], s[2:3]
	v_mul_f64 v[7:8], v[7:8], s[2:3]
	v_cvt_f32_f64_e32 v5, v[5:6]
	v_cvt_f32_f64_e32 v6, v[7:8]
	global_store_dwordx2 v[0:1], v[5:6], off
	global_load_dwordx2 v[8:9], v[108:109], off offset:3280
	ds_read2_b64 v[4:7], v4 offset0:26 offset1:176
	s_waitcnt vmcnt(0) lgkmcnt(0)
	v_mul_f32_e32 v10, v5, v9
	v_mul_f32_e32 v9, v4, v9
	v_fmac_f32_e32 v10, v4, v8
	v_fma_f32 v8, v8, v5, -v9
	v_cvt_f64_f32_e32 v[4:5], v10
	v_cvt_f64_f32_e32 v[8:9], v8
	v_add_co_u32_e32 v10, vcc, s7, v108
	v_mul_f64 v[4:5], v[4:5], s[2:3]
	v_mul_f64 v[8:9], v[8:9], s[2:3]
	v_addc_co_u32_e32 v11, vcc, 0, v109, vcc
	v_add_co_u32_e32 v0, vcc, s4, v0
	v_addc_co_u32_e32 v1, vcc, v1, v12, vcc
	v_cvt_f32_f64_e32 v4, v[4:5]
	v_cvt_f32_f64_e32 v5, v[8:9]
	global_store_dwordx2 v[0:1], v[4:5], off
	global_load_dwordx2 v[4:5], v[10:11], off offset:384
	v_add_co_u32_e32 v0, vcc, s4, v0
	v_addc_co_u32_e32 v1, vcc, v1, v12, vcc
	s_waitcnt vmcnt(0)
	v_mul_f32_e32 v8, v7, v5
	v_mul_f32_e32 v5, v6, v5
	v_fmac_f32_e32 v8, v6, v4
	v_fma_f32 v6, v4, v7, -v5
	v_cvt_f64_f32_e32 v[4:5], v8
	v_cvt_f64_f32_e32 v[6:7], v6
	v_mul_f64 v[4:5], v[4:5], s[2:3]
	v_mul_f64 v[6:7], v[6:7], s[2:3]
	v_cvt_f32_f64_e32 v4, v[4:5]
	v_cvt_f32_f64_e32 v5, v[6:7]
	global_store_dwordx2 v[0:1], v[4:5], off
	global_load_dwordx2 v[7:8], v[10:11], off offset:1584
	ds_read2_b64 v[3:6], v3 offset0:70 offset1:220
	v_add_co_u32_e32 v0, vcc, s4, v0
	v_addc_co_u32_e32 v1, vcc, v1, v12, vcc
	s_waitcnt vmcnt(0) lgkmcnt(0)
	v_mul_f32_e32 v9, v4, v8
	v_mul_f32_e32 v8, v3, v8
	v_fmac_f32_e32 v9, v3, v7
	v_fma_f32 v7, v7, v4, -v8
	v_cvt_f64_f32_e32 v[3:4], v9
	v_cvt_f64_f32_e32 v[7:8], v7
	v_mul_f64 v[3:4], v[3:4], s[2:3]
	v_mul_f64 v[7:8], v[7:8], s[2:3]
	v_cvt_f32_f64_e32 v3, v[3:4]
	v_cvt_f32_f64_e32 v4, v[7:8]
	global_store_dwordx2 v[0:1], v[3:4], off
	global_load_dwordx2 v[3:4], v[10:11], off offset:2784
	v_add_co_u32_e32 v0, vcc, s4, v0
	v_addc_co_u32_e32 v1, vcc, v1, v12, vcc
	s_waitcnt vmcnt(0)
	v_mul_f32_e32 v7, v6, v4
	v_mul_f32_e32 v4, v5, v4
	v_fmac_f32_e32 v7, v5, v3
	v_fma_f32 v5, v3, v6, -v4
	v_cvt_f64_f32_e32 v[3:4], v7
	v_cvt_f64_f32_e32 v[5:6], v5
	v_mul_f64 v[3:4], v[3:4], s[2:3]
	v_mul_f64 v[5:6], v[5:6], s[2:3]
	v_cvt_f32_f64_e32 v3, v[3:4]
	v_cvt_f32_f64_e32 v4, v[5:6]
	global_store_dwordx2 v[0:1], v[3:4], off
	global_load_dwordx2 v[7:8], v[10:11], off offset:3984
	v_add_u32_e32 v3, 0x1e00, v153
	ds_read2_b64 v[3:6], v3 offset0:50 offset1:200
	s_waitcnt vmcnt(0) lgkmcnt(0)
	v_mul_f32_e32 v9, v4, v8
	v_mul_f32_e32 v8, v3, v8
	v_fmac_f32_e32 v9, v3, v7
	v_fma_f32 v7, v7, v4, -v8
	v_cvt_f64_f32_e32 v[3:4], v9
	v_cvt_f64_f32_e32 v[7:8], v7
	v_add_co_u32_e32 v9, vcc, s6, v108
	v_mul_f64 v[3:4], v[3:4], s[2:3]
	v_mul_f64 v[7:8], v[7:8], s[2:3]
	v_addc_co_u32_e32 v10, vcc, 0, v109, vcc
	v_add_co_u32_e32 v0, vcc, s4, v0
	v_addc_co_u32_e32 v1, vcc, v1, v12, vcc
	v_cvt_f32_f64_e32 v3, v[3:4]
	v_cvt_f32_f64_e32 v4, v[7:8]
	global_store_dwordx2 v[0:1], v[3:4], off
	global_load_dwordx2 v[3:4], v[9:10], off offset:1088
	s_waitcnt vmcnt(0)
	v_mul_f32_e32 v7, v6, v4
	v_mul_f32_e32 v4, v5, v4
	v_fmac_f32_e32 v7, v5, v3
	v_fma_f32 v5, v3, v6, -v4
	v_cvt_f64_f32_e32 v[3:4], v7
	v_cvt_f64_f32_e32 v[5:6], v5
	v_mul_f64 v[3:4], v[3:4], s[2:3]
	v_mul_f64 v[5:6], v[5:6], s[2:3]
	v_cvt_f32_f64_e32 v3, v[3:4]
	v_cvt_f32_f64_e32 v4, v[5:6]
	v_add_co_u32_e32 v5, vcc, s4, v0
	v_addc_co_u32_e32 v6, vcc, v1, v12, vcc
	global_store_dwordx2 v[5:6], v[3:4], off
	global_load_dwordx2 v[7:8], v[9:10], off offset:2288
	ds_read2_b64 v[0:3], v2 offset0:30 offset1:180
	s_waitcnt vmcnt(0) lgkmcnt(0)
	v_mul_f32_e32 v4, v1, v8
	v_mul_f32_e32 v8, v0, v8
	v_fmac_f32_e32 v4, v0, v7
	v_fma_f32 v7, v7, v1, -v8
	v_cvt_f64_f32_e32 v[0:1], v4
	v_cvt_f64_f32_e32 v[7:8], v7
	v_add_co_u32_e32 v4, vcc, s4, v5
	v_mul_f64 v[0:1], v[0:1], s[2:3]
	v_mul_f64 v[7:8], v[7:8], s[2:3]
	v_addc_co_u32_e32 v5, vcc, v6, v12, vcc
	v_cvt_f32_f64_e32 v0, v[0:1]
	v_cvt_f32_f64_e32 v1, v[7:8]
	global_store_dwordx2 v[4:5], v[0:1], off
	global_load_dwordx2 v[0:1], v[9:10], off offset:3488
	s_waitcnt vmcnt(0)
	v_mul_f32_e32 v6, v3, v1
	v_mul_f32_e32 v1, v2, v1
	v_fmac_f32_e32 v6, v2, v0
	v_fma_f32 v2, v0, v3, -v1
	v_cvt_f64_f32_e32 v[0:1], v6
	v_cvt_f64_f32_e32 v[2:3], v2
	v_add_co_u32_e32 v6, vcc, s0, v108
	v_mul_f64 v[0:1], v[0:1], s[2:3]
	v_mul_f64 v[2:3], v[2:3], s[2:3]
	v_addc_co_u32_e32 v7, vcc, 0, v109, vcc
	v_cvt_f32_f64_e32 v0, v[0:1]
	v_cvt_f32_f64_e32 v1, v[2:3]
	v_add_co_u32_e32 v2, vcc, s4, v4
	v_addc_co_u32_e32 v3, vcc, v5, v12, vcc
	global_store_dwordx2 v[2:3], v[0:1], off
	global_load_dwordx2 v[0:1], v[6:7], off offset:592
	ds_read_b64 v[4:5], v153 offset:12880
	v_add_co_u32_e32 v2, vcc, s4, v2
	v_addc_co_u32_e32 v3, vcc, v3, v12, vcc
	s_waitcnt vmcnt(0) lgkmcnt(0)
	v_mul_f32_e32 v6, v5, v1
	v_mul_f32_e32 v1, v4, v1
	v_fmac_f32_e32 v6, v4, v0
	v_fma_f32 v4, v0, v5, -v1
	v_cvt_f64_f32_e32 v[0:1], v6
	v_cvt_f64_f32_e32 v[4:5], v4
	v_mul_f64 v[0:1], v[0:1], s[2:3]
	v_mul_f64 v[4:5], v[4:5], s[2:3]
	v_cvt_f32_f64_e32 v0, v[0:1]
	v_cvt_f32_f64_e32 v1, v[4:5]
	global_store_dwordx2 v[2:3], v[0:1], off
.LBB0_23:
	s_endpgm
	.section	.rodata,"a",@progbits
	.p2align	6, 0x0
	.amdhsa_kernel bluestein_single_back_len1650_dim1_sp_op_CI_CI
		.amdhsa_group_segment_fixed_size 13200
		.amdhsa_private_segment_fixed_size 0
		.amdhsa_kernarg_size 104
		.amdhsa_user_sgpr_count 6
		.amdhsa_user_sgpr_private_segment_buffer 1
		.amdhsa_user_sgpr_dispatch_ptr 0
		.amdhsa_user_sgpr_queue_ptr 0
		.amdhsa_user_sgpr_kernarg_segment_ptr 1
		.amdhsa_user_sgpr_dispatch_id 0
		.amdhsa_user_sgpr_flat_scratch_init 0
		.amdhsa_user_sgpr_private_segment_size 0
		.amdhsa_uses_dynamic_stack 0
		.amdhsa_system_sgpr_private_segment_wavefront_offset 0
		.amdhsa_system_sgpr_workgroup_id_x 1
		.amdhsa_system_sgpr_workgroup_id_y 0
		.amdhsa_system_sgpr_workgroup_id_z 0
		.amdhsa_system_sgpr_workgroup_info 0
		.amdhsa_system_vgpr_workitem_id 0
		.amdhsa_next_free_vgpr 242
		.amdhsa_next_free_sgpr 22
		.amdhsa_reserve_vcc 1
		.amdhsa_reserve_flat_scratch 0
		.amdhsa_float_round_mode_32 0
		.amdhsa_float_round_mode_16_64 0
		.amdhsa_float_denorm_mode_32 3
		.amdhsa_float_denorm_mode_16_64 3
		.amdhsa_dx10_clamp 1
		.amdhsa_ieee_mode 1
		.amdhsa_fp16_overflow 0
		.amdhsa_exception_fp_ieee_invalid_op 0
		.amdhsa_exception_fp_denorm_src 0
		.amdhsa_exception_fp_ieee_div_zero 0
		.amdhsa_exception_fp_ieee_overflow 0
		.amdhsa_exception_fp_ieee_underflow 0
		.amdhsa_exception_fp_ieee_inexact 0
		.amdhsa_exception_int_div_zero 0
	.end_amdhsa_kernel
	.text
.Lfunc_end0:
	.size	bluestein_single_back_len1650_dim1_sp_op_CI_CI, .Lfunc_end0-bluestein_single_back_len1650_dim1_sp_op_CI_CI
                                        ; -- End function
	.section	.AMDGPU.csdata,"",@progbits
; Kernel info:
; codeLenInByte = 22884
; NumSgprs: 26
; NumVgprs: 242
; ScratchSize: 0
; MemoryBound: 0
; FloatMode: 240
; IeeeMode: 1
; LDSByteSize: 13200 bytes/workgroup (compile time only)
; SGPRBlocks: 3
; VGPRBlocks: 60
; NumSGPRsForWavesPerEU: 26
; NumVGPRsForWavesPerEU: 242
; Occupancy: 1
; WaveLimiterHint : 1
; COMPUTE_PGM_RSRC2:SCRATCH_EN: 0
; COMPUTE_PGM_RSRC2:USER_SGPR: 6
; COMPUTE_PGM_RSRC2:TRAP_HANDLER: 0
; COMPUTE_PGM_RSRC2:TGID_X_EN: 1
; COMPUTE_PGM_RSRC2:TGID_Y_EN: 0
; COMPUTE_PGM_RSRC2:TGID_Z_EN: 0
; COMPUTE_PGM_RSRC2:TIDIG_COMP_CNT: 0
	.type	__hip_cuid_7d4b82c53f2bbd7a,@object ; @__hip_cuid_7d4b82c53f2bbd7a
	.section	.bss,"aw",@nobits
	.globl	__hip_cuid_7d4b82c53f2bbd7a
__hip_cuid_7d4b82c53f2bbd7a:
	.byte	0                               ; 0x0
	.size	__hip_cuid_7d4b82c53f2bbd7a, 1

	.ident	"AMD clang version 19.0.0git (https://github.com/RadeonOpenCompute/llvm-project roc-6.4.0 25133 c7fe45cf4b819c5991fe208aaa96edf142730f1d)"
	.section	".note.GNU-stack","",@progbits
	.addrsig
	.addrsig_sym __hip_cuid_7d4b82c53f2bbd7a
	.amdgpu_metadata
---
amdhsa.kernels:
  - .args:
      - .actual_access:  read_only
        .address_space:  global
        .offset:         0
        .size:           8
        .value_kind:     global_buffer
      - .actual_access:  read_only
        .address_space:  global
        .offset:         8
        .size:           8
        .value_kind:     global_buffer
      - .actual_access:  read_only
        .address_space:  global
        .offset:         16
        .size:           8
        .value_kind:     global_buffer
      - .actual_access:  read_only
        .address_space:  global
        .offset:         24
        .size:           8
        .value_kind:     global_buffer
      - .actual_access:  read_only
        .address_space:  global
        .offset:         32
        .size:           8
        .value_kind:     global_buffer
      - .offset:         40
        .size:           8
        .value_kind:     by_value
      - .address_space:  global
        .offset:         48
        .size:           8
        .value_kind:     global_buffer
      - .address_space:  global
        .offset:         56
        .size:           8
        .value_kind:     global_buffer
      - .address_space:  global
        .offset:         64
        .size:           8
        .value_kind:     global_buffer
      - .address_space:  global
        .offset:         72
        .size:           8
        .value_kind:     global_buffer
      - .offset:         80
        .size:           4
        .value_kind:     by_value
      - .address_space:  global
        .offset:         88
        .size:           8
        .value_kind:     global_buffer
      - .address_space:  global
        .offset:         96
        .size:           8
        .value_kind:     global_buffer
    .group_segment_fixed_size: 13200
    .kernarg_segment_align: 8
    .kernarg_segment_size: 104
    .language:       OpenCL C
    .language_version:
      - 2
      - 0
    .max_flat_workgroup_size: 110
    .name:           bluestein_single_back_len1650_dim1_sp_op_CI_CI
    .private_segment_fixed_size: 0
    .sgpr_count:     26
    .sgpr_spill_count: 0
    .symbol:         bluestein_single_back_len1650_dim1_sp_op_CI_CI.kd
    .uniform_work_group_size: 1
    .uses_dynamic_stack: false
    .vgpr_count:     242
    .vgpr_spill_count: 0
    .wavefront_size: 64
amdhsa.target:   amdgcn-amd-amdhsa--gfx906
amdhsa.version:
  - 1
  - 2
...

	.end_amdgpu_metadata
